;; amdgpu-corpus repo=ROCm/rocFFT kind=compiled arch=gfx1201 opt=O3
	.text
	.amdgcn_target "amdgcn-amd-amdhsa--gfx1201"
	.amdhsa_code_object_version 6
	.protected	bluestein_single_fwd_len297_dim1_half_op_CI_CI ; -- Begin function bluestein_single_fwd_len297_dim1_half_op_CI_CI
	.globl	bluestein_single_fwd_len297_dim1_half_op_CI_CI
	.p2align	8
	.type	bluestein_single_fwd_len297_dim1_half_op_CI_CI,@function
bluestein_single_fwd_len297_dim1_half_op_CI_CI: ; @bluestein_single_fwd_len297_dim1_half_op_CI_CI
; %bb.0:
	s_load_b128 s[16:19], s[0:1], 0x28
	v_mul_u32_u24_e32 v1, 0x7c2, v0
	s_mov_b32 s2, exec_lo
	s_delay_alu instid0(VALU_DEP_1) | instskip(NEXT) | instid1(VALU_DEP_1)
	v_lshrrev_b32_e32 v1, 16, v1
	v_mad_co_u64_u32 v[8:9], null, ttmp9, 7, v[1:2]
	v_mov_b32_e32 v9, 0
	s_wait_kmcnt 0x0
	s_delay_alu instid0(VALU_DEP_1)
	v_cmpx_gt_u64_e64 s[16:17], v[8:9]
	s_cbranch_execz .LBB0_10
; %bb.1:
	s_clause 0x1
	s_load_b128 s[4:7], s[0:1], 0x18
	s_load_b128 s[8:11], s[0:1], 0x0
	v_mul_lo_u16 v1, v1, 33
                                        ; implicit-def: $vgpr93
                                        ; implicit-def: $vgpr92
                                        ; implicit-def: $vgpr94
	s_delay_alu instid0(VALU_DEP_1) | instskip(NEXT) | instid1(VALU_DEP_1)
	v_sub_nc_u16 v0, v0, v1
	v_and_b32_e32 v40, 0xffff, v0
	v_add_nc_u16 v13, v0, 33
	v_add_nc_u16 v14, v0, 0x42
	s_delay_alu instid0(VALU_DEP_3) | instskip(NEXT) | instid1(VALU_DEP_3)
	v_lshlrev_b32_e32 v50, 2, v40
	v_and_b32_e32 v15, 0xff, v13
	s_delay_alu instid0(VALU_DEP_3)
	v_and_b32_e32 v16, 0xff, v14
	s_wait_kmcnt 0x0
	s_load_b128 s[12:15], s[4:5], 0x0
	s_clause 0x7
	global_load_b32 v43, v50, s[8:9]
	global_load_b32 v44, v50, s[8:9] offset:132
	global_load_b32 v42, v50, s[8:9] offset:264
	;; [unrolled: 1-line block ×7, first 2 shown]
	s_wait_kmcnt 0x0
	v_mad_co_u64_u32 v[1:2], null, s14, v8, 0
	v_mad_co_u64_u32 v[3:4], null, s12, v40, 0
	s_mul_u64 s[2:3], s[12:13], 0x84
	s_delay_alu instid0(VALU_DEP_1) | instskip(NEXT) | instid1(VALU_DEP_1)
	v_mad_co_u64_u32 v[5:6], null, s15, v8, v[2:3]
	v_mad_co_u64_u32 v[6:7], null, s13, v40, v[4:5]
	v_mov_b32_e32 v2, v5
	s_delay_alu instid0(VALU_DEP_1) | instskip(NEXT) | instid1(VALU_DEP_3)
	v_lshlrev_b64_e32 v[1:2], 2, v[1:2]
	v_mov_b32_e32 v4, v6
	s_delay_alu instid0(VALU_DEP_2) | instskip(NEXT) | instid1(VALU_DEP_2)
	v_add_co_u32 v1, vcc_lo, s18, v1
	v_lshlrev_b64_e32 v[3:4], 2, v[3:4]
	s_delay_alu instid0(VALU_DEP_4) | instskip(NEXT) | instid1(VALU_DEP_2)
	v_add_co_ci_u32_e32 v2, vcc_lo, s19, v2, vcc_lo
	v_add_co_u32 v1, vcc_lo, v1, v3
	s_wait_alu 0xfffd
	s_delay_alu instid0(VALU_DEP_2) | instskip(NEXT) | instid1(VALU_DEP_2)
	v_add_co_ci_u32_e32 v2, vcc_lo, v2, v4, vcc_lo
	v_add_co_u32 v3, vcc_lo, v1, s2
	s_wait_alu 0xfffd
	s_delay_alu instid0(VALU_DEP_2)
	v_add_co_ci_u32_e32 v4, vcc_lo, s3, v2, vcc_lo
	global_load_b32 v5, v[1:2], off
	v_add_co_u32 v1, vcc_lo, v3, s2
	s_wait_alu 0xfffd
	v_add_co_ci_u32_e32 v2, vcc_lo, s3, v4, vcc_lo
	global_load_b32 v6, v[3:4], off
	global_load_b32 v29, v50, s[8:9] offset:1056
	global_load_b32 v7, v[1:2], off
	v_add_co_u32 v1, vcc_lo, v1, s2
	s_wait_alu 0xfffd
	v_add_co_ci_u32_e32 v2, vcc_lo, s3, v2, vcc_lo
	s_delay_alu instid0(VALU_DEP_2) | instskip(SKIP_1) | instid1(VALU_DEP_2)
	v_add_co_u32 v3, vcc_lo, v1, s2
	s_wait_alu 0xfffd
	v_add_co_ci_u32_e32 v4, vcc_lo, s3, v2, vcc_lo
	s_clause 0x1
	global_load_b32 v9, v[1:2], off
	global_load_b32 v10, v[3:4], off
	v_add_co_u32 v1, vcc_lo, v3, s2
	s_wait_alu 0xfffd
	v_add_co_ci_u32_e32 v2, vcc_lo, s3, v4, vcc_lo
	s_delay_alu instid0(VALU_DEP_2) | instskip(SKIP_1) | instid1(VALU_DEP_2)
	v_add_co_u32 v3, vcc_lo, v1, s2
	s_wait_alu 0xfffd
	v_add_co_ci_u32_e32 v4, vcc_lo, s3, v2, vcc_lo
	global_load_b32 v11, v[1:2], off
	v_add_co_u32 v1, vcc_lo, v3, s2
	s_wait_alu 0xfffd
	v_add_co_ci_u32_e32 v2, vcc_lo, s3, v4, vcc_lo
	global_load_b32 v12, v[3:4], off
	;; [unrolled: 4-line block ×3, first 2 shown]
	global_load_b32 v2, v[3:4], off
	v_mul_hi_u32 v3, 0x24924925, v8
	s_load_b128 s[4:7], s[6:7], 0x0
	v_cmp_gt_u16_e32 vcc_lo, 27, v0
	s_load_b64 s[2:3], s[0:1], 0x38
	s_delay_alu instid0(VALU_DEP_2) | instskip(NEXT) | instid1(VALU_DEP_1)
	v_sub_nc_u32_e32 v4, v8, v3
	v_lshrrev_b32_e32 v4, 1, v4
	s_delay_alu instid0(VALU_DEP_1) | instskip(SKIP_1) | instid1(VALU_DEP_2)
	v_add_nc_u32_e32 v3, v4, v3
	v_and_b32_e32 v4, 0xff, v0
	v_lshrrev_b32_e32 v3, 2, v3
	s_delay_alu instid0(VALU_DEP_2) | instskip(NEXT) | instid1(VALU_DEP_2)
	v_mul_lo_u16 v4, v4, 57
	v_mul_lo_u32 v3, v3, 7
	s_delay_alu instid0(VALU_DEP_2) | instskip(SKIP_2) | instid1(VALU_DEP_3)
	v_lshrrev_b16 v17, 9, v4
	v_mul_lo_u16 v4, v15, 57
	v_mul_lo_u16 v15, v16, 57
	;; [unrolled: 1-line block ×3, first 2 shown]
	s_delay_alu instid0(VALU_DEP_3) | instskip(SKIP_1) | instid1(VALU_DEP_4)
	v_lshrrev_b16 v18, 9, v4
	v_sub_nc_u32_e32 v3, v8, v3
	v_lshrrev_b16 v15, 9, v15
	s_delay_alu instid0(VALU_DEP_4) | instskip(NEXT) | instid1(VALU_DEP_4)
	v_sub_nc_u16 v16, v0, v16
	v_mul_lo_u16 v19, v18, 9
	s_delay_alu instid0(VALU_DEP_4) | instskip(NEXT) | instid1(VALU_DEP_4)
	v_mul_u32_u24_e32 v3, 0x129, v3
	v_mul_lo_u16 v20, v15, 9
	s_delay_alu instid0(VALU_DEP_4) | instskip(NEXT) | instid1(VALU_DEP_3)
	v_lshlrev_b16 v21, 1, v16
	v_lshlrev_b32_e32 v49, 2, v3
	s_delay_alu instid0(VALU_DEP_1)
	v_add_nc_u32_e32 v33, v50, v49
	s_wait_loadcnt 0x11
	v_lshrrev_b32_e32 v48, 16, v43
	s_wait_loadcnt 0x10
	v_lshrrev_b32_e32 v47, 16, v44
	;; [unrolled: 2-line block ×9, first 2 shown]
	v_mul_f16_e32 v4, v48, v5
	s_wait_loadcnt 0x8
	v_lshrrev_b32_e32 v23, 16, v6
	s_delay_alu instid0(VALU_DEP_3)
	v_mul_f16_e32 v22, v48, v3
	v_mul_f16_e32 v24, v47, v6
	v_fma_f16 v3, v43, v3, -v4
	s_wait_loadcnt 0x7
	v_lshrrev_b32_e32 v32, 16, v29
	v_mul_f16_e32 v4, v47, v23
	v_fmac_f16_e32 v22, v43, v5
	s_wait_loadcnt 0x6
	v_lshrrev_b32_e32 v5, 16, v7
	v_fma_f16 v23, v44, v23, -v24
	v_mul_f16_e32 v24, v46, v7
	v_fmac_f16_e32 v4, v44, v6
	v_pack_b32_f16 v3, v22, v3
	v_mul_f16_e32 v6, v46, v5
	s_wait_loadcnt 0x5
	v_lshrrev_b32_e32 v22, 16, v9
	v_mul_f16_e32 v25, v45, v9
	v_fma_f16 v5, v42, v5, -v24
	v_pack_b32_f16 v4, v4, v23
	v_fmac_f16_e32 v6, v42, v7
	v_mul_f16_e32 v7, v45, v22
	v_fma_f16 v22, v38, v22, -v25
	s_wait_loadcnt 0x4
	v_lshrrev_b32_e32 v23, 16, v10
	v_mul_f16_e32 v24, v41, v10
	v_pack_b32_f16 v5, v6, v5
	v_fmac_f16_e32 v7, v38, v9
	s_wait_loadcnt 0x3
	v_lshrrev_b32_e32 v6, 16, v11
	v_mul_f16_e32 v9, v41, v23
	v_fma_f16 v23, v36, v23, -v24
	v_mul_f16_e32 v24, v39, v11
	v_pack_b32_f16 v7, v7, v22
	v_mul_f16_e32 v22, v39, v6
	v_fmac_f16_e32 v9, v36, v10
	s_wait_loadcnt 0x2
	v_lshrrev_b32_e32 v10, 16, v12
	v_fma_f16 v6, v35, v6, -v24
	v_mul_f16_e32 v24, v37, v12
	v_fmac_f16_e32 v22, v35, v11
	s_wait_loadcnt 0x1
	v_lshrrev_b32_e32 v11, 16, v1
	s_wait_loadcnt 0x0
	v_lshrrev_b32_e32 v26, 16, v2
	v_mul_f16_e32 v25, v37, v10
	v_fma_f16 v10, v31, v10, -v24
	v_mul_f16_e32 v24, v34, v1
	v_mul_f16_e32 v27, v34, v11
	;; [unrolled: 1-line block ×4, first 2 shown]
	v_fmac_f16_e32 v25, v31, v12
	v_fma_f16 v11, v30, v11, -v24
	v_fmac_f16_e32 v27, v30, v1
	v_fma_f16 v1, v29, v26, -v28
	v_fmac_f16_e32 v51, v29, v2
	v_pack_b32_f16 v2, v9, v23
	v_pack_b32_f16 v6, v22, v6
	;; [unrolled: 1-line block ×5, first 2 shown]
	ds_store_2addr_b32 v33, v3, v4 offset1:33
	ds_store_2addr_b32 v33, v5, v7 offset0:66 offset1:99
	ds_store_2addr_b32 v33, v2, v6 offset0:132 offset1:165
	;; [unrolled: 1-line block ×3, first 2 shown]
	ds_store_b32 v33, v1 offset:1056
	global_wb scope:SCOPE_SE
	s_wait_dscnt 0x0
	s_wait_kmcnt 0x0
	s_barrier_signal -1
	s_barrier_wait -1
	global_inv scope:SCOPE_SE
	ds_load_2addr_b32 v[1:2], v33 offset1:33
	ds_load_2addr_b32 v[3:4], v33 offset0:66 offset1:99
	ds_load_b32 v7, v33 offset:1056
	ds_load_2addr_b32 v[5:6], v33 offset0:198 offset1:231
	ds_load_2addr_b32 v[9:10], v33 offset0:132 offset1:165
	v_sub_nc_u16 v11, v13, v19
	v_mul_lo_u16 v13, v0, 9
	v_sub_nc_u16 v12, v14, v20
	v_and_b32_e32 v14, 0xfe, v21
	global_wb scope:SCOPE_SE
	s_wait_dscnt 0x0
	v_and_b32_e32 v19, 0xff, v11
	v_and_b32_e32 v11, 0xffff, v13
	;; [unrolled: 1-line block ×3, first 2 shown]
	v_lshlrev_b32_e32 v12, 2, v14
	s_barrier_signal -1
	v_lshlrev_b32_e32 v21, 3, v19
	v_lshl_add_u32 v51, v11, 2, v49
	v_lshlrev_b32_e32 v22, 3, v20
	s_barrier_wait -1
	global_inv scope:SCOPE_SE
	v_lshrrev_b32_e32 v23, 16, v1
	v_pk_add_f16 v11, v2, v7
	v_pk_add_f16 v13, v3, v6
	;; [unrolled: 1-line block ×3, first 2 shown]
	v_pk_add_f16 v2, v2, v7 neg_lo:[0,1] neg_hi:[0,1]
	v_pk_add_f16 v3, v3, v6 neg_lo:[0,1] neg_hi:[0,1]
	;; [unrolled: 1-line block ×4, first 2 shown]
	v_pk_add_f16 v6, v9, v10
	v_lshrrev_b32_e32 v7, 16, v11
	v_fmamk_f16 v24, v11, 0x3a21, v1
	v_lshrrev_b32_e32 v25, 16, v13
	v_pk_add_f16 v26, v13, v11
	v_mul_f16_e32 v52, 0x3924, v2
	v_lshrrev_b32_e32 v53, 16, v2
	v_lshrrev_b32_e32 v55, 16, v5
	v_pk_mul_f16 v58, 0xb924, v5 op_sel_hi:[0,1]
	v_pk_fma_f16 v59, 0x3a21, v6, v1 op_sel_hi:[0,1,1]
	v_mul_f16_e32 v60, 0x3be1, v5
	v_fmamk_f16 v27, v13, 0x3a21, v1
	v_pk_mul_f16 v28, 0x3aee, v4 op_sel_hi:[0,1]
	v_lshrrev_b32_e32 v54, 16, v3
	v_pk_mul_f16 v56, v14, 0.5 op_sel_hi:[1,0]
	v_lshrrev_b32_e32 v57, 16, v6
	v_pk_add_f16 v62, v5, v2
	v_fmamk_f16 v63, v7, 0x3a21, v23
	v_fmac_f16_e32 v24, 0x318f, v13
	v_pk_add_f16 v64, v14, v26
	v_fmac_f16_e32 v23, 0x3a21, v25
	v_mul_f16_e32 v65, 0x3924, v53
	v_fmac_f16_e32 v52, 0x3be1, v3
	v_pk_fma_f16 v58, 0x3be1, v2, v58 op_sel_hi:[0,1,1]
	v_pk_fma_f16 v59, 0x318f, v11, v59 op_sel_hi:[0,1,1]
	v_mul_f16_e32 v68, 0x3be1, v55
	v_fma_f16 v60, v3, 0xb924, -v60
	v_pk_add_f16 v61, v14, v1
	v_lshrrev_b32_e32 v66, 16, v28
	v_lshrrev_b32_e32 v67, 16, v56
	v_fmac_f16_e32 v27, 0x318f, v6
	v_pk_add_f16 v62, v62, v3 neg_lo:[0,1] neg_hi:[0,1]
	v_pk_add_f16 v26, v6, v26
	v_fmac_f16_e32 v63, 0x318f, v25
	v_pk_add_f16 v9, v9, v64
	v_fmac_f16_e32 v65, 0x3be1, v54
	v_add_f16_e32 v25, v28, v52
	v_sub_f16_e32 v24, v24, v56
	v_pk_fma_f16 v4, 0x3aee, v4, v58 op_sel_hi:[0,1,1] neg_lo:[0,1,0] neg_hi:[0,1,0]
	v_pk_fma_f16 v14, v14, 0.5, v59 op_sel_hi:[1,0,1] neg_lo:[1,0,0] neg_hi:[1,0,0]
	v_fma_f16 v52, v54, 0xb924, -v68
	v_add_f16_e32 v28, v28, v60
	v_fmac_f16_e32 v23, 0x318f, v57
	v_sub_f16_e32 v27, v27, v56
	v_pk_mul_f16 v54, 0x3aee, v62 op_sel_hi:[0,1]
	v_pk_fma_f16 v26, v26, 0.5, v61 op_sel_hi:[1,0,1] neg_lo:[1,0,0] neg_hi:[1,0,0]
	v_pk_add_f16 v9, v10, v9
	v_add_f16_e32 v10, v66, v65
	v_fmac_f16_e32 v24, 0xbb84, v6
	v_pk_fma_f16 v3, 0x3579, v3, v4 op_sel_hi:[0,1,1]
	v_pk_fma_f16 v4, 0xbb84, v13, v14 op_sel_hi:[0,1,1]
	v_add_f16_e32 v6, v66, v52
	v_fmac_f16_e32 v28, 0x3579, v2
	v_sub_f16_e32 v2, v23, v67
	v_fmac_f16_e32 v25, 0x3579, v5
	v_sub_f16_e32 v5, v63, v67
	v_fmac_f16_e32 v27, 0xbb84, v11
	v_pk_add_f16 v11, v26, v54 op_sel:[0,1] op_sel_hi:[1,0]
	v_pk_add_f16 v13, v26, v54 op_sel:[0,1] op_sel_hi:[1,0] neg_lo:[0,1] neg_hi:[0,1]
	v_lshrrev_b32_e32 v14, 16, v54
	v_pk_add_f16 v1, v9, v1
	v_fmac_f16_e32 v10, 0x3579, v55
	v_pk_add_f16 v9, v4, v3 op_sel:[0,1] op_sel_hi:[1,0]
	v_pk_add_f16 v4, v4, v3 op_sel:[0,1] op_sel_hi:[1,0] neg_lo:[0,1] neg_hi:[0,1]
	v_lshrrev_b32_e32 v23, 16, v3
	v_fmac_f16_e32 v6, 0x3579, v53
	v_fmac_f16_e32 v2, 0xbb84, v7
	;; [unrolled: 1-line block ×3, first 2 shown]
	v_bfi_b32 v7, 0xffff, v11, v13
	v_fmac_f16_e32 v11, -2.0, v14
	v_add_f16_e32 v14, v10, v24
	v_bfi_b32 v24, 0xffff, v9, v4
	v_fmac_f16_e32 v9, -2.0, v23
	v_add_f16_e32 v23, v6, v27
	v_sub_f16_e32 v2, v2, v28
	v_lshrrev_b32_e32 v13, 16, v13
	v_lshrrev_b32_e32 v4, 16, v4
	v_sub_f16_e32 v5, v5, v25
	v_fma_f16 v6, -2.0, v6, v23
	v_fma_f16 v26, 2.0, v28, v2
	v_fmac_f16_e32 v13, 2.0, v54
	v_fmac_f16_e32 v4, 2.0, v3
	v_fma_f16 v10, -2.0, v10, v14
	v_fma_f16 v25, 2.0, v25, v5
	v_pack_b32_f16 v3, v14, v5
	v_pack_b32_f16 v2, v23, v2
	;; [unrolled: 1-line block ×6, first 2 shown]
	ds_store_2addr_b32 v51, v1, v3 offset1:1
	ds_store_2addr_b32 v51, v24, v7 offset0:2 offset1:3
	ds_store_2addr_b32 v51, v2, v6 offset0:4 offset1:5
	;; [unrolled: 1-line block ×3, first 2 shown]
	ds_store_b32 v51, v9 offset:32
	global_wb scope:SCOPE_SE
	s_wait_dscnt 0x0
	s_barrier_signal -1
	s_barrier_wait -1
	global_inv scope:SCOPE_SE
	s_clause 0x2
	global_load_b64 v[13:14], v12, s[10:11]
	global_load_b64 v[11:12], v21, s[10:11]
	;; [unrolled: 1-line block ×3, first 2 shown]
	v_and_b32_e32 v1, 0xffff, v18
	v_and_b32_e32 v2, 0xffff, v15
	v_mad_u16 v5, v17, 27, v16
	s_delay_alu instid0(VALU_DEP_3) | instskip(NEXT) | instid1(VALU_DEP_3)
	v_mul_u32_u24_e32 v6, 27, v1
	v_mul_u32_u24_e32 v7, 27, v2
	ds_load_2addr_b32 v[21:22], v33 offset1:33
	ds_load_2addr_b32 v[23:24], v33 offset0:66 offset1:99
	ds_load_2addr_b32 v[1:2], v33 offset0:198 offset1:231
	;; [unrolled: 1-line block ×3, first 2 shown]
	v_and_b32_e32 v0, 0xff, v5
	v_add_nc_u32_e32 v5, v6, v19
	v_add_nc_u32_e32 v6, v7, v20
	ds_load_b32 v7, v33 offset:1056
	v_add_co_u32 v19, s0, s8, v50
	v_lshl_add_u32 v54, v0, 2, v49
	v_lshl_add_u32 v53, v5, 2, v49
	;; [unrolled: 1-line block ×3, first 2 shown]
	s_wait_alu 0xf1ff
	v_add_co_ci_u32_e64 v20, null, s9, 0, s0
	global_wb scope:SCOPE_SE
	s_wait_loadcnt_dscnt 0x0
	s_barrier_signal -1
	s_barrier_wait -1
	global_inv scope:SCOPE_SE
	v_lshrrev_b32_e32 v82, 16, v22
	v_lshrrev_b32_e32 v0, 16, v24
	;; [unrolled: 1-line block ×15, first 2 shown]
	v_mul_f16_e32 v18, v0, v64
	v_mul_f16_e32 v25, v24, v64
	;; [unrolled: 1-line block ×12, first 2 shown]
	v_fma_f16 v18, v24, v13, -v18
	v_fmac_f16_e32 v25, v0, v13
	v_fma_f16 v0, v1, v14, -v26
	v_fmac_f16_e32 v27, v5, v14
	;; [unrolled: 2-line block ×6, first 2 shown]
	v_add_f16_e32 v6, v18, v0
	v_add_f16_e32 v16, v25, v27
	v_add_f16_e32 v28, v1, v2
	v_sub_f16_e32 v56, v55, v57
	v_add_f16_e32 v58, v82, v55
	v_add_f16_e32 v55, v55, v57
	v_add_f16_e32 v68, v3, v4
	v_sub_f16_e32 v69, v65, v67
	;; [unrolled: 4-line block ×3, first 2 shown]
	v_add_f16_e32 v15, v83, v25
	v_sub_f16_e32 v24, v18, v0
	v_add_f16_e32 v18, v22, v1
	v_fma_f16 v25, -0.5, v6, v21
	v_fmac_f16_e32 v83, -0.5, v16
	v_sub_f16_e32 v1, v1, v2
	v_fmac_f16_e32 v22, -0.5, v28
	v_fmac_f16_e32 v82, -0.5, v55
	v_add_f16_e32 v66, v23, v3
	v_sub_f16_e32 v3, v3, v4
	v_fmac_f16_e32 v23, -0.5, v68
	v_fmac_f16_e32 v88, -0.5, v65
	v_add_f16_e32 v17, v5, v0
	v_add_f16_e32 v71, v15, v27
	;; [unrolled: 1-line block ×3, first 2 shown]
	v_fmamk_f16 v18, v7, 0x3aee, v25
	v_fmamk_f16 v85, v24, 0xbaee, v83
	v_fmac_f16_e32 v25, 0xbaee, v7
	v_fmac_f16_e32 v83, 0x3aee, v24
	v_add_f16_e32 v84, v58, v57
	v_fmamk_f16 v21, v56, 0x3aee, v22
	v_fmamk_f16 v90, v1, 0xbaee, v82
	v_fmac_f16_e32 v22, 0xbaee, v56
	v_fmac_f16_e32 v82, 0x3aee, v1
	v_add_f16_e32 v27, v66, v4
	v_add_f16_e32 v89, v70, v67
	v_fmamk_f16 v28, v69, 0x3aee, v23
	v_fmamk_f16 v91, v3, 0xbaee, v88
	v_fmac_f16_e32 v23, 0xbaee, v69
	v_fmac_f16_e32 v88, 0x3aee, v3
	v_pack_b32_f16 v0, v17, v71
	v_pack_b32_f16 v3, v18, v85
	v_pack_b32_f16 v4, v25, v83
	v_pack_b32_f16 v1, v26, v84
	v_pack_b32_f16 v5, v21, v90
	v_pack_b32_f16 v6, v22, v82
	v_pack_b32_f16 v2, v27, v89
	v_pack_b32_f16 v7, v28, v91
	v_pack_b32_f16 v15, v23, v88
	ds_store_2addr_b32 v54, v0, v3 offset1:9
	ds_store_b32 v54, v4 offset:72
	ds_store_2addr_b32 v53, v1, v5 offset1:9
	ds_store_b32 v53, v6 offset:72
	;; [unrolled: 2-line block ×3, first 2 shown]
	global_wb scope:SCOPE_SE
	s_wait_dscnt 0x0
	s_barrier_signal -1
	s_barrier_wait -1
	global_inv scope:SCOPE_SE
	s_and_saveexec_b32 s0, vcc_lo
	s_cbranch_execz .LBB0_3
; %bb.2:
	ds_load_2addr_b32 v[17:18], v33 offset1:27
	ds_load_2addr_b32 v[25:26], v33 offset0:54 offset1:81
	ds_load_2addr_b32 v[21:22], v33 offset0:108 offset1:135
	;; [unrolled: 1-line block ×4, first 2 shown]
	ds_load_b32 v92, v33 offset:1080
	s_wait_dscnt 0x5
	v_lshrrev_b32_e32 v71, 16, v17
	v_lshrrev_b32_e32 v85, 16, v18
	s_wait_dscnt 0x4
	v_lshrrev_b32_e32 v83, 16, v25
	v_lshrrev_b32_e32 v84, 16, v26
	;; [unrolled: 3-line block ×5, first 2 shown]
	s_wait_dscnt 0x0
	v_lshrrev_b32_e32 v94, 16, v92
.LBB0_3:
	s_wait_alu 0xfffe
	s_or_b32 exec_lo, exec_lo, s0
	v_subrev_nc_u32_e32 v0, 27, v40
	s_delay_alu instid0(VALU_DEP_1) | instskip(NEXT) | instid1(VALU_DEP_1)
	v_cndmask_b32_e32 v0, v0, v40, vcc_lo
	v_mul_i32_i24_e32 v1, 40, v0
	v_mul_hi_i32_i24_e32 v0, 40, v0
	s_delay_alu instid0(VALU_DEP_2) | instskip(SKIP_1) | instid1(VALU_DEP_2)
	v_add_co_u32 v15, s0, s10, v1
	s_wait_alu 0xf1ff
	v_add_co_ci_u32_e64 v16, s0, s11, v0, s0
	s_clause 0x2
	global_load_b128 v[4:7], v[15:16], off offset:72
	global_load_b128 v[0:3], v[15:16], off offset:88
	global_load_b64 v[15:16], v[15:16], off offset:104
	s_wait_loadcnt 0x2
	v_lshrrev_b32_e32 v69, 16, v4
	v_lshrrev_b32_e32 v65, 16, v6
	;; [unrolled: 1-line block ×3, first 2 shown]
	s_wait_loadcnt 0x0
	v_lshrrev_b32_e32 v70, 16, v16
	v_lshrrev_b32_e32 v67, 16, v5
	v_lshrrev_b32_e32 v68, 16, v15
	v_mul_f16_e32 v86, v85, v69
	v_mul_f16_e32 v81, v18, v69
	;; [unrolled: 1-line block ×6, first 2 shown]
	v_lshrrev_b32_e32 v55, 16, v0
	v_lshrrev_b32_e32 v66, 16, v3
	v_mul_f16_e32 v95, v83, v67
	v_mul_f16_e32 v80, v25, v67
	;; [unrolled: 1-line block ×6, first 2 shown]
	v_fma_f16 v87, v18, v4, -v86
	v_fmac_f16_e32 v81, v85, v4
	v_fmac_f16_e32 v79, v84, v6
	v_fma_f16 v84, v21, v7, -v97
	v_fma_f16 v21, v92, v16, -v103
	v_fmac_f16_e32 v73, v94, v16
	v_lshrrev_b32_e32 v56, 16, v1
	v_lshrrev_b32_e32 v58, 16, v2
	v_mul_f16_e32 v98, v82, v55
	v_mul_f16_e32 v101, v88, v66
	;; [unrolled: 1-line block ×3, first 2 shown]
	v_fma_f16 v86, v25, v5, -v95
	v_fmac_f16_e32 v80, v83, v5
	v_fma_f16 v85, v26, v6, -v96
	v_fma_f16 v26, v24, v15, -v102
	v_fmac_f16_e32 v72, v93, v15
	v_sub_f16_e32 v107, v87, v21
	v_sub_f16_e32 v117, v81, v73
	v_mul_f16_e32 v77, v22, v55
	v_mul_f16_e32 v99, v89, v56
	;; [unrolled: 1-line block ×4, first 2 shown]
	v_fma_f16 v83, v22, v0, -v98
	v_fma_f16 v22, v23, v3, -v101
	v_fmac_f16_e32 v74, v88, v3
	v_add_f16_e32 v103, v87, v21
	v_add_f16_e32 v121, v81, v73
	v_sub_f16_e32 v109, v86, v26
	v_sub_f16_e32 v118, v80, v72
	v_mul_f16_e32 v95, 0xb853, v117
	v_mul_f16_e32 v97, 0xb853, v107
	;; [unrolled: 1-line block ×5, first 2 shown]
	v_fmac_f16_e32 v78, v90, v7
	v_fmac_f16_e32 v77, v82, v0
	v_fma_f16 v82, v27, v1, -v99
	v_fma_f16 v27, v28, v2, -v100
	v_fmac_f16_e32 v75, v91, v2
	v_add_f16_e32 v105, v86, v26
	v_add_f16_e32 v124, v80, v72
	v_sub_f16_e32 v110, v85, v22
	v_sub_f16_e32 v120, v79, v74
	v_mul_f16_e32 v93, 0xbb47, v118
	v_mul_f16_e32 v96, 0xbb47, v109
	;; [unrolled: 1-line block ×4, first 2 shown]
	v_fmamk_f16 v18, v103, 0x3abb, v95
	v_fma_f16 v23, v121, 0x3abb, -v97
	v_fmamk_f16 v24, v103, 0x36a6, v111
	v_fma_f16 v25, v121, 0x36a6, -v116
	v_fmac_f16_e32 v76, v89, v1
	v_add_f16_e32 v106, v85, v22
	v_add_f16_e32 v122, v79, v74
	v_sub_f16_e32 v112, v84, v27
	v_sub_f16_e32 v123, v78, v75
	v_mul_f16_e32 v91, 0xbbeb, v120
	v_mul_f16_e32 v94, 0xbbeb, v110
	;; [unrolled: 1-line block ×4, first 2 shown]
	v_fmamk_f16 v127, v105, 0x36a6, v93
	v_fma_f16 v128, v124, 0x36a6, -v96
	v_fma_f16 v129, 0xb93d, v105, v101
	v_fma_f16 v130, v124, 0xb93d, -v115
	v_add_f16_e32 v18, v17, v18
	v_add_f16_e32 v23, v71, v23
	;; [unrolled: 1-line block ×6, first 2 shown]
	v_sub_f16_e32 v114, v83, v82
	v_sub_f16_e32 v119, v77, v76
	v_mul_f16_e32 v88, 0xba0c, v123
	v_mul_f16_e32 v92, 0xba0c, v112
	;; [unrolled: 1-line block ×4, first 2 shown]
	v_fma_f16 v131, 0xb08e, v106, v91
	v_fma_f16 v132, v122, 0xb08e, -v94
	v_fma_f16 v133, 0xbbad, v106, v100
	v_fma_f16 v134, v122, 0xbbad, -v113
	v_add_f16_e32 v18, v127, v18
	v_add_f16_e64 v23, v128, v23
	v_add_f16_e64 v24, v129, v24
	;; [unrolled: 1-line block ×3, first 2 shown]
	v_add_f16_e32 v98, v83, v82
	v_add_f16_e32 v126, v77, v76
	v_mul_f16_e32 v28, 0xb482, v119
	v_mul_f16_e32 v89, 0xb482, v114
	;; [unrolled: 1-line block ×4, first 2 shown]
	v_fma_f16 v135, 0xb93d, v108, v88
	v_fma_f16 v136, v125, 0xb93d, -v92
	v_fma_f16 v137, 0xb08e, v108, v99
	v_fma_f16 v138, v125, 0xb08e, -v104
	v_add_f16_e64 v18, v131, v18
	v_add_f16_e64 v23, v132, v23
	;; [unrolled: 1-line block ×4, first 2 shown]
	v_fma_f16 v139, 0xbbad, v98, v28
	v_fma_f16 v140, v126, 0xbbad, -v89
	v_fmamk_f16 v127, v98, 0x3abb, v90
	v_fma_f16 v128, v126, 0x3abb, -v102
	v_add_f16_e64 v18, v135, v18
	v_add_f16_e64 v23, v136, v23
	;; [unrolled: 1-line block ×4, first 2 shown]
	s_delay_alu instid0(VALU_DEP_4) | instskip(NEXT) | instid1(VALU_DEP_4)
	v_add_f16_e64 v24, v139, v18
	v_add_f16_e64 v25, v140, v23
	s_delay_alu instid0(VALU_DEP_4) | instskip(NEXT) | instid1(VALU_DEP_4)
	v_add_f16_e64 v18, v127, v129
	v_add_f16_e64 v23, v128, v130
	s_and_saveexec_b32 s0, vcc_lo
	s_cbranch_execz .LBB0_5
; %bb.4:
	v_mul_f16_e64 v149, 0xbbeb, v117
	v_mul_f16_e64 v154, 0x3482, v118
	;; [unrolled: 1-line block ×5, first 2 shown]
	v_fma_f16 v153, 0xb08e, v103, v149
	v_fma_f16 v156, 0xbbad, v105, v154
	;; [unrolled: 1-line block ×3, first 2 shown]
	v_mul_f16_e64 v159, 0xb853, v123
	v_fma_f16 v150, 0xb482, v109, v146
	v_add_f16_e64 v153, v17, v153
	v_mul_f16_e64 v151, 0x36a6, v122
	v_add_f16_e64 v145, v71, v145
	v_mul_f16_e64 v161, 0xba0c, v119
	v_mul_f16_e64 v155, 0x3abb, v125
	v_add_f16_e64 v153, v156, v153
	v_fma_f16 v156, 0x36a6, v106, v157
	v_add_f16_e64 v145, v150, v145
	v_fma_f16 v150, 0xbb47, v110, v151
	v_mul_f16_e64 v163, 0xba0c, v117
	v_mul_f16_e64 v158, 0xb93d, v126
	v_add_f16_e64 v153, v156, v153
	v_fma_f16 v156, 0x3abb, v108, v159
	v_add_f16_e64 v145, v150, v145
	v_fma_f16 v150, 0x3853, v112, v155
	;; [unrolled: 6-line block ×3, first 2 shown]
	v_fma_f16 v168, 0xb08e, v105, v166
	v_mul_f16_e64 v169, 0xb853, v120
	v_add_f16_e64 v153, v156, v153
	v_fma_f16 v156, 0xb93d, v103, v163
	v_add_f16_e64 v145, v150, v145
	v_fma_f16 v150, 0x3a0c, v107, v160
	v_mul_f16_e64 v162, 0xb08e, v124
	v_mul_f16_e64 v171, 0xb482, v123
	v_add_f16_e64 v156, v17, v156
	v_mul_f16_e64 v165, 0x3abb, v122
	v_add_f16_e64 v150, v71, v150
	v_fma_f16 v164, 0xbbeb, v109, v162
	v_mul_f16_e64 v172, 0x3b47, v119
	v_add_f16_e64 v156, v168, v156
	v_fma_f16 v168, 0x3abb, v106, v169
	;; [unrolled: 3-line block ×3, first 2 shown]
	v_mul_f16_e32 v117, 0xb482, v117
	v_add_f16_e64 v156, v168, v156
	v_fma_f16 v168, 0xbbad, v108, v171
	v_mul_f16_e64 v170, 0x36a6, v126
	v_add_f16_e64 v150, v164, v150
	v_fma_f16 v164, 0x3482, v112, v167
	v_mul_f16_e32 v118, 0x3853, v118
	v_add_f16_e64 v156, v168, v156
	v_fma_f16 v168, 0x36a6, v98, v172
	v_mul_f16_e64 v128, 0x3abb, v121
	v_mul_f16_e64 v130, 0x36a6, v121
	v_add_f16_e64 v150, v164, v150
	v_fma_f16 v164, 0xbb47, v114, v170
	v_add_f16_e64 v156, v168, v156
	v_fma_f16 v168, 0xbbad, v103, v117
	v_fma_f16 v117, v103, 0xbbad, -v117
	v_mul_f16_e32 v121, 0xbbad, v121
	v_fma_f16 v174, 0x3abb, v105, v118
	v_mul_f16_e32 v120, 0xba0c, v120
	v_add_f16_e64 v168, v17, v168
	v_add_f16_e32 v117, v17, v117
	v_fma_f16 v118, v105, 0x3abb, -v118
	v_fmac_f16_e64 v160, 0xba0c, v107
	v_mul_f16_e64 v132, 0x36a6, v124
	v_mul_f16_e64 v134, 0xb93d, v124
	v_add_f16_e64 v150, v164, v150
	v_fma_f16 v164, 0x3482, v107, v121
	v_mul_f16_e32 v124, 0x3abb, v124
	v_add_f16_e64 v168, v174, v168
	v_fma_f16 v174, 0xb93d, v106, v120
	v_mul_f16_e32 v123, 0x3b47, v123
	v_fmac_f16_e32 v121, 0xb482, v107
	v_add_f16_e32 v117, v118, v117
	v_fma_f16 v118, v106, 0xb93d, -v120
	v_add_f16_e64 v120, v71, v160
	v_fmac_f16_e64 v162, 0x3beb, v109
	v_add_f16_e32 v87, v17, v87
	v_add_f16_e32 v81, v71, v81
	v_fma_f16 v173, 0xb853, v109, v124
	v_add_f16_e64 v168, v174, v168
	v_fma_f16 v174, 0x36a6, v108, v123
	v_add_f16_e32 v121, v71, v121
	v_fmac_f16_e32 v124, 0x3853, v109
	v_mul_f16_e32 v119, 0xbbeb, v119
	v_add_f16_e32 v117, v118, v117
	v_fma_f16 v118, v108, 0x36a6, -v123
	v_add_f16_e64 v120, v162, v120
	v_fmac_f16_e64 v165, 0xb853, v110
	v_fma_f16 v123, v103, 0xb93d, -v163
	v_add_f16_e32 v86, v87, v86
	v_add_f16_e32 v80, v81, v80
	;; [unrolled: 1-line block ×3, first 2 shown]
	v_fmamk_f16 v124, v98, 0xb08e, v119
	v_add_f16_e32 v117, v118, v117
	v_fma_f16 v118, v98, 0xb08e, -v119
	v_add_f16_e64 v119, v165, v120
	v_fmac_f16_e64 v167, 0xb482, v112
	v_add_f16_e32 v120, v17, v123
	v_fma_f16 v123, v105, 0xb08e, -v166
	v_add_f16_e32 v85, v86, v85
	v_add_f16_e32 v79, v80, v79
	v_mul_f16_e32 v127, 0x3abb, v103
	v_mul_f16_e64 v129, 0x36a6, v103
	v_fmac_f16_e64 v140, 0xbbeb, v107
	v_add_f16_e32 v107, v118, v117
	v_add_f16_e64 v117, v167, v119
	v_add_f16_e32 v118, v123, v120
	v_fma_f16 v119, v106, 0x3abb, -v169
	v_fma_f16 v103, v103, 0xb08e, -v149
	v_add_f16_e32 v84, v85, v84
	v_add_f16_e32 v78, v79, v78
	v_mul_f16_e64 v131, 0x36a6, v105
	v_mul_f16_e64 v133, 0xb93d, v105
	;; [unrolled: 1-line block ×4, first 2 shown]
	v_add_f16_e64 v164, v71, v164
	v_mul_f16_e32 v122, 0xb93d, v122
	v_fmac_f16_e64 v146, 0x3482, v109
	v_add_f16_e32 v109, v119, v118
	v_fma_f16 v118, v108, 0xbbad, -v171
	v_add_f16_e32 v103, v17, v103
	v_fma_f16 v105, v105, 0xbbad, -v154
	v_add_f16_e32 v83, v84, v83
	v_add_f16_e32 v77, v78, v77
	v_mul_f16_e64 v135, 0xb08e, v106
	v_mul_f16_e64 v137, 0xbbad, v106
	;; [unrolled: 1-line block ×4, first 2 shown]
	v_add_f16_e64 v164, v173, v164
	v_fma_f16 v173, 0x3a0c, v110, v122
	v_mul_f16_e32 v125, 0x36a6, v125
	v_add_f16_e32 v109, v118, v109
	v_add_f16_e32 v103, v105, v103
	v_fma_f16 v105, v106, 0x36a6, -v157
	v_fma_f16 v106, v98, 0x36a6, -v172
	v_add_f16_e32 v82, v83, v82
	v_add_f16_e32 v76, v77, v76
	v_add_f16_e64 v164, v173, v164
	v_fma_f16 v173, 0xbb47, v112, v125
	v_fmac_f16_e32 v125, 0x3b47, v112
	v_fmac_f16_e64 v155, 0xb853, v112
	v_add_f16_e64 v112, v116, v130
	v_add_f16_e32 v106, v106, v109
	v_sub_f16_e64 v109, v129, v111
	v_add_f16_e64 v85, v97, v128
	v_sub_f16_e32 v78, v127, v95
	v_add_f16_e32 v27, v82, v27
	v_add_f16_e32 v75, v76, v75
	v_mul_f16_e64 v139, 0xb93d, v108
	v_mul_f16_e64 v142, 0xb08e, v108
	v_add_f16_e64 v120, v71, v140
	v_add_f16_e32 v103, v105, v103
	v_fma_f16 v105, v108, 0x3abb, -v159
	v_add_f16_e32 v108, v71, v112
	v_add_f16_e64 v112, v115, v134
	v_add_f16_e32 v109, v17, v109
	v_sub_f16_e64 v101, v133, v101
	v_add_f16_e32 v71, v71, v85
	v_add_f16_e64 v84, v96, v132
	v_add_f16_e32 v17, v17, v78
	v_sub_f16_e64 v77, v131, v93
	v_add_f16_e32 v22, v27, v22
	v_add_f16_e32 v27, v75, v74
	v_add_f16_e32 v103, v105, v103
	v_add_f16_e32 v105, v112, v108
	v_add_f16_e64 v108, v113, v138
	v_add_f16_e32 v81, v101, v109
	v_sub_f16_e64 v87, v137, v100
	v_add_f16_e32 v71, v84, v71
	v_add_f16_e64 v76, v94, v136
	v_add_f16_e32 v17, v77, v17
	v_sub_f16_e64 v77, v135, v91
	v_fmac_f16_e64 v170, 0x3b47, v114
	v_add_f16_e64 v119, v146, v120
	v_fmac_f16_e64 v151, 0x3b47, v110
	v_fmac_f16_e32 v122, 0xba0c, v110
	v_add_f16_e32 v22, v22, v26
	v_add_f16_e32 v26, v27, v72
	v_mul_f16_e64 v144, 0xbbad, v98
	v_mul_f16_e64 v147, 0xbbad, v126
	;; [unrolled: 1-line block ×4, first 2 shown]
	v_add_f16_e32 v105, v108, v105
	v_add_f16_e64 v104, v104, v143
	v_add_f16_e32 v81, v87, v81
	v_sub_f16_e64 v86, v142, v99
	v_add_f16_e32 v71, v76, v71
	v_add_f16_e64 v74, v92, v141
	v_add_f16_e32 v17, v77, v17
	v_sub_f16_e64 v27, v139, v88
	v_add_f16_e64 v110, v170, v117
	v_add_f16_e64 v117, v151, v119
	v_mul_f16_e32 v126, 0xb08e, v126
	v_add_f16_e32 v121, v122, v121
	v_add_f16_e32 v21, v22, v21
	;; [unrolled: 1-line block ×4, first 2 shown]
	v_add_f16_e64 v79, v102, v152
	v_add_f16_e32 v81, v86, v81
	v_add_f16_e32 v71, v74, v71
	v_add_f16_e64 v72, v89, v147
	v_add_f16_e32 v17, v27, v17
	v_sub_f16_e64 v26, v144, v28
	v_sub_f16_e64 v27, v148, v90
	v_add_f16_e64 v116, v155, v117
	v_fmac_f16_e64 v158, 0xba0c, v114
	v_fma_f16 v98, v98, 0xb93d, -v161
	v_add_f16_e64 v164, v173, v164
	v_fma_f16 v173, 0x3beb, v114, v126
	v_add_f16_e64 v168, v174, v168
	v_add_f16_e32 v121, v125, v121
	v_fmac_f16_e32 v126, 0xbbeb, v114
	v_pack_b32_f16 v21, v21, v22
	v_add_f16_e32 v28, v79, v80
	v_add_f16_e32 v22, v72, v71
	;; [unrolled: 1-line block ×4, first 2 shown]
	v_add_f16_e64 v111, v158, v116
	v_add_f16_e32 v27, v98, v103
	v_add_f16_e64 v164, v173, v164
	v_add_f16_e64 v122, v124, v168
	v_add_f16_e32 v121, v126, v121
	ds_store_b32 v33, v21
	v_lshl_add_u32 v21, v40, 2, v49
	v_pack_b32_f16 v17, v17, v22
	v_pack_b32_f16 v22, v26, v28
	;; [unrolled: 1-line block ×8, first 2 shown]
	v_perm_b32 v74, v23, v18, 0x5040100
	v_perm_b32 v75, v25, v24, 0x5040100
	v_add_nc_u32_e32 v76, 0x200, v21
	ds_store_2addr_b32 v21, v17, v22 offset0:27 offset1:54
	ds_store_2addr_b32 v21, v26, v27 offset0:81 offset1:108
	;; [unrolled: 1-line block ×5, first 2 shown]
.LBB0_5:
	s_wait_alu 0xfffe
	s_or_b32 exec_lo, exec_lo, s0
	s_add_nc_u64 s[0:1], s[8:9], 0x4a4
	global_wb scope:SCOPE_SE
	s_wait_dscnt 0x0
	s_barrier_signal -1
	s_barrier_wait -1
	global_inv scope:SCOPE_SE
	s_clause 0x8
	global_load_b32 v17, v[19:20], off offset:1188
	global_load_b32 v28, v50, s[0:1] offset:132
	global_load_b32 v73, v50, s[0:1] offset:264
	global_load_b32 v74, v50, s[0:1] offset:396
	global_load_b32 v75, v50, s[0:1] offset:528
	global_load_b32 v76, v50, s[0:1] offset:660
	global_load_b32 v77, v50, s[0:1] offset:792
	global_load_b32 v78, v50, s[0:1] offset:924
	global_load_b32 v50, v50, s[0:1] offset:1056
	ds_load_2addr_b32 v[19:20], v33 offset1:33
	ds_load_2addr_b32 v[21:22], v33 offset0:66 offset1:99
	ds_load_2addr_b32 v[26:27], v33 offset0:132 offset1:165
	;; [unrolled: 1-line block ×3, first 2 shown]
	ds_load_b32 v79, v33 offset:1056
	s_wait_dscnt 0x4
	v_lshrrev_b32_e32 v80, 16, v19
	v_lshrrev_b32_e32 v81, 16, v20
	s_wait_dscnt 0x3
	v_lshrrev_b32_e32 v82, 16, v21
	v_lshrrev_b32_e32 v83, 16, v22
	;; [unrolled: 3-line block ×4, first 2 shown]
	s_wait_dscnt 0x0
	v_lshrrev_b32_e32 v88, 16, v79
	s_wait_loadcnt 0x8
	v_lshrrev_b32_e32 v89, 16, v17
	s_wait_loadcnt 0x7
	;; [unrolled: 2-line block ×9, first 2 shown]
	v_lshrrev_b32_e32 v97, 16, v50
	v_mul_f16_e32 v98, v80, v89
	v_mul_f16_e32 v89, v19, v89
	;; [unrolled: 1-line block ×18, first 2 shown]
	v_fma_f16 v19, v19, v17, -v98
	v_fmac_f16_e32 v89, v80, v17
	v_fma_f16 v17, v20, v28, -v99
	v_fmac_f16_e32 v90, v81, v28
	;; [unrolled: 2-line block ×9, first 2 shown]
	v_pack_b32_f16 v19, v19, v89
	v_pack_b32_f16 v17, v17, v90
	;; [unrolled: 1-line block ×9, first 2 shown]
	ds_store_2addr_b32 v33, v19, v17 offset1:33
	ds_store_2addr_b32 v33, v20, v21 offset0:66 offset1:99
	ds_store_2addr_b32 v33, v22, v26 offset0:132 offset1:165
	;; [unrolled: 1-line block ×3, first 2 shown]
	ds_store_b32 v33, v50 offset:1056
	global_wb scope:SCOPE_SE
	s_wait_dscnt 0x0
	s_barrier_signal -1
	s_barrier_wait -1
	global_inv scope:SCOPE_SE
	ds_load_2addr_b32 v[19:20], v33 offset1:33
	ds_load_2addr_b32 v[21:22], v33 offset0:66 offset1:99
	ds_load_b32 v17, v33 offset:1056
	ds_load_2addr_b32 v[26:27], v33 offset0:198 offset1:231
	ds_load_2addr_b32 v[71:72], v33 offset0:132 offset1:165
	global_wb scope:SCOPE_SE
	s_wait_dscnt 0x0
	s_barrier_signal -1
	s_barrier_wait -1
	global_inv scope:SCOPE_SE
	v_lshrrev_b32_e32 v74, 16, v19
	v_pk_add_f16 v28, v20, v17
	v_pk_add_f16 v50, v21, v27
	;; [unrolled: 1-line block ×3, first 2 shown]
	v_pk_add_f16 v17, v20, v17 neg_lo:[0,1] neg_hi:[0,1]
	v_pk_add_f16 v20, v21, v27 neg_lo:[0,1] neg_hi:[0,1]
	;; [unrolled: 1-line block ×4, first 2 shown]
	v_pk_add_f16 v26, v71, v72
	v_lshrrev_b32_e32 v27, 16, v28
	v_fmamk_f16 v75, v28, 0x3a21, v19
	v_lshrrev_b32_e32 v76, 16, v50
	v_mul_f16_e32 v80, 0x3924, v17
	v_lshrrev_b32_e32 v83, 16, v22
	v_mul_f16_e32 v88, 0x3be1, v22
	v_pk_add_f16 v77, v50, v28
	v_pk_mul_f16 v86, 0xb924, v22 op_sel_hi:[0,1]
	v_pk_fma_f16 v87, 0x3a21, v26, v19 op_sel_hi:[0,1,1]
	v_lshrrev_b32_e32 v81, 16, v17
	v_fmamk_f16 v78, v50, 0x3a21, v19
	v_pk_mul_f16 v79, 0x3aee, v21 op_sel_hi:[0,1]
	v_lshrrev_b32_e32 v82, 16, v20
	v_pk_mul_f16 v84, v73, 0.5 op_sel_hi:[1,0]
	v_lshrrev_b32_e32 v85, 16, v26
	v_pk_add_f16 v90, v22, v17
	v_fmamk_f16 v91, v27, 0x3a21, v74
	v_fmac_f16_e32 v75, 0x318f, v50
	v_fmac_f16_e32 v74, 0x3a21, v76
	;; [unrolled: 1-line block ×3, first 2 shown]
	v_mul_f16_e32 v96, 0x3be1, v83
	v_fma_f16 v88, v20, 0xb924, -v88
	v_pk_add_f16 v92, v73, v77
	v_pk_fma_f16 v86, 0x3be1, v17, v86 op_sel_hi:[0,1,1]
	v_pk_fma_f16 v87, 0x318f, v28, v87 op_sel_hi:[0,1,1]
	v_mul_f16_e32 v93, 0x3924, v81
	v_pk_add_f16 v89, v73, v19
	v_lshrrev_b32_e32 v94, 16, v79
	v_lshrrev_b32_e32 v95, 16, v84
	v_fmac_f16_e32 v78, 0x318f, v26
	v_pk_add_f16 v90, v90, v20 neg_lo:[0,1] neg_hi:[0,1]
	v_pk_add_f16 v77, v26, v77
	v_fmac_f16_e32 v91, 0x318f, v76
	v_add_f16_e32 v76, v79, v80
	v_sub_f16_e32 v75, v75, v84
	v_fma_f16 v80, v82, 0xb924, -v96
	v_add_f16_e32 v79, v79, v88
	v_fmac_f16_e32 v74, 0x318f, v85
	v_pk_add_f16 v71, v71, v92
	v_pk_fma_f16 v21, 0x3aee, v21, v86 op_sel_hi:[0,1,1] neg_lo:[0,1,0] neg_hi:[0,1,0]
	v_pk_fma_f16 v73, v73, 0.5, v87 op_sel_hi:[1,0,1] neg_lo:[1,0,0] neg_hi:[1,0,0]
	v_fmac_f16_e32 v93, 0x3be1, v82
	v_sub_f16_e32 v78, v78, v84
	v_pk_mul_f16 v82, 0x3aee, v90 op_sel_hi:[0,1]
	v_pk_fma_f16 v77, v77, 0.5, v89 op_sel_hi:[1,0,1] neg_lo:[1,0,0] neg_hi:[1,0,0]
	v_fmac_f16_e32 v75, 0xbb84, v26
	v_add_f16_e32 v26, v94, v80
	v_fmac_f16_e32 v79, 0x3579, v17
	v_sub_f16_e32 v17, v74, v95
	v_pk_add_f16 v71, v72, v71
	v_fmac_f16_e32 v76, 0x3579, v22
	v_sub_f16_e32 v22, v91, v95
	v_pk_fma_f16 v20, 0x3579, v20, v21 op_sel_hi:[0,1,1]
	v_pk_fma_f16 v21, 0xbb84, v50, v73 op_sel_hi:[0,1,1]
	v_add_f16_e32 v72, v94, v93
	v_fmac_f16_e32 v78, 0xbb84, v28
	v_pk_add_f16 v28, v77, v82 op_sel:[0,1] op_sel_hi:[1,0] neg_lo:[0,1] neg_hi:[0,1]
	v_pk_add_f16 v50, v77, v82 op_sel:[0,1] op_sel_hi:[1,0]
	v_fmac_f16_e32 v26, 0x3579, v81
	v_fmac_f16_e32 v17, 0xbb84, v27
	v_pk_add_f16 v19, v71, v19
	v_fmac_f16_e32 v22, 0xbb84, v85
	v_pk_add_f16 v71, v21, v20 op_sel:[0,1] op_sel_hi:[1,0] neg_lo:[0,1] neg_hi:[0,1]
	v_pk_add_f16 v21, v21, v20 op_sel:[0,1] op_sel_hi:[1,0]
	v_fmac_f16_e32 v72, 0x3579, v83
	v_bfi_b32 v27, 0xffff, v28, v50
	v_sub_f16_e32 v50, v78, v26
	v_add_f16_e32 v17, v79, v17
	v_add_f16_e32 v22, v76, v22
	v_bfi_b32 v21, 0xffff, v71, v21
	v_sub_f16_e32 v28, v75, v72
	v_fma_f16 v26, 2.0, v26, v50
	v_fma_f16 v75, -2.0, v79, v17
	v_pk_fma_f16 v71, v82, 2.0, v27 op_sel:[1,0,0] op_sel_hi:[0,0,1]
	v_pk_fma_f16 v73, v82, 2.0, v27 op_sel:[1,0,0] op_sel_hi:[0,0,1] neg_lo:[1,0,0] neg_hi:[1,0,0]
	v_fma_f16 v74, -2.0, v76, v22
	v_pk_fma_f16 v76, v20, 2.0, v21 op_sel:[1,0,0] op_sel_hi:[0,0,1]
	v_pk_fma_f16 v20, v20, 2.0, v21 op_sel:[1,0,0] op_sel_hi:[0,0,1] neg_lo:[1,0,0] neg_hi:[1,0,0]
	v_fma_f16 v72, 2.0, v72, v28
	v_pack_b32_f16 v22, v28, v22
	v_pack_b32_f16 v17, v50, v17
	;; [unrolled: 1-line block ×3, first 2 shown]
	v_bfi_b32 v28, 0xffff, v71, v73
	v_bfi_b32 v20, 0xffff, v76, v20
	v_pack_b32_f16 v50, v72, v74
	ds_store_2addr_b32 v51, v19, v22 offset1:1
	ds_store_2addr_b32 v51, v21, v27 offset0:2 offset1:3
	ds_store_2addr_b32 v51, v17, v26 offset0:4 offset1:5
	;; [unrolled: 1-line block ×3, first 2 shown]
	ds_store_b32 v51, v50 offset:32
	global_wb scope:SCOPE_SE
	s_wait_dscnt 0x0
	s_barrier_signal -1
	s_barrier_wait -1
	global_inv scope:SCOPE_SE
	ds_load_2addr_b32 v[19:20], v33 offset1:33
	ds_load_2addr_b32 v[21:22], v33 offset0:66 offset1:99
	ds_load_2addr_b32 v[71:72], v33 offset0:198 offset1:231
	;; [unrolled: 1-line block ×3, first 2 shown]
	ds_load_b32 v17, v33 offset:1056
	global_wb scope:SCOPE_SE
	s_wait_dscnt 0x0
	s_barrier_signal -1
	s_barrier_wait -1
	global_inv scope:SCOPE_SE
	v_lshrrev_b32_e32 v50, 16, v19
	v_lshrrev_b32_e32 v27, 16, v22
	;; [unrolled: 1-line block ×5, first 2 shown]
	v_mul_f16_e32 v79, v64, v22
	v_lshrrev_b32_e32 v77, 16, v74
	v_lshrrev_b32_e32 v78, 16, v17
	v_mul_f16_e32 v82, v61, v72
	v_mul_f16_e32 v83, v60, v74
	;; [unrolled: 1-line block ×6, first 2 shown]
	v_fma_f16 v27, v13, v27, -v79
	v_mul_f16_e32 v62, v62, v75
	v_mul_f16_e32 v79, v61, v76
	;; [unrolled: 1-line block ×3, first 2 shown]
	v_fma_f16 v61, v12, v76, -v82
	v_mul_f16_e32 v60, v60, v77
	v_fma_f16 v76, v9, v77, -v83
	v_mul_f16_e32 v77, v59, v78
	v_fma_f16 v51, v14, v51, -v80
	v_fma_f16 v75, v11, v75, -v81
	v_fmac_f16_e32 v64, v13, v22
	v_fmac_f16_e32 v63, v14, v71
	v_lshrrev_b32_e32 v26, 16, v20
	v_fmac_f16_e32 v62, v11, v73
	v_fmac_f16_e32 v79, v12, v72
	v_lshrrev_b32_e32 v28, 16, v21
	v_fma_f16 v59, v10, v78, -v84
	v_fmac_f16_e32 v60, v9, v74
	v_fmac_f16_e32 v77, v10, v17
	v_add_f16_e32 v10, v27, v51
	v_add_f16_e32 v13, v75, v61
	;; [unrolled: 1-line block ×4, first 2 shown]
	v_sub_f16_e32 v17, v75, v61
	v_add_f16_e32 v11, v26, v75
	v_add_f16_e32 v75, v62, v79
	v_sub_f16_e32 v71, v76, v59
	v_add_f16_e32 v14, v28, v76
	v_add_f16_e32 v72, v76, v59
	;; [unrolled: 1-line block ×3, first 2 shown]
	v_sub_f16_e32 v12, v27, v51
	v_add_f16_e32 v73, v19, v64
	v_fmac_f16_e32 v50, -0.5, v10
	v_sub_f16_e32 v10, v64, v63
	v_fmac_f16_e32 v26, -0.5, v13
	v_fma_f16 v13, -0.5, v74, v19
	v_add_f16_e32 v22, v9, v51
	v_add_f16_e32 v64, v20, v62
	;; [unrolled: 1-line block ×3, first 2 shown]
	v_sub_f16_e32 v11, v62, v79
	v_fmac_f16_e32 v20, -0.5, v75
	v_add_f16_e32 v62, v21, v60
	v_fmac_f16_e32 v28, -0.5, v72
	v_sub_f16_e32 v72, v60, v77
	v_fmac_f16_e32 v21, -0.5, v76
	v_add_f16_e32 v9, v73, v63
	v_fmamk_f16 v61, v10, 0x3aee, v50
	v_fmac_f16_e32 v50, 0xbaee, v10
	v_fmamk_f16 v10, v12, 0xbaee, v13
	v_fmac_f16_e32 v13, 0x3aee, v12
	v_add_f16_e32 v27, v14, v59
	v_add_f16_e32 v14, v64, v79
	v_fmamk_f16 v59, v11, 0x3aee, v26
	v_fmamk_f16 v19, v17, 0xbaee, v20
	v_fmac_f16_e32 v26, 0xbaee, v11
	v_fmac_f16_e32 v20, 0x3aee, v17
	v_add_f16_e32 v11, v62, v77
	v_fmamk_f16 v60, v72, 0x3aee, v28
	v_fmamk_f16 v12, v71, 0xbaee, v21
	v_fmac_f16_e32 v28, 0xbaee, v72
	v_fmac_f16_e32 v21, 0x3aee, v71
	v_pack_b32_f16 v17, v9, v22
	v_pack_b32_f16 v64, v10, v61
	;; [unrolled: 1-line block ×9, first 2 shown]
	ds_store_2addr_b32 v54, v17, v64 offset1:9
	ds_store_b32 v54, v71 offset:72
	ds_store_2addr_b32 v53, v62, v72 offset1:9
	ds_store_b32 v53, v73 offset:72
	;; [unrolled: 2-line block ×3, first 2 shown]
	global_wb scope:SCOPE_SE
	s_wait_dscnt 0x0
	s_barrier_signal -1
	s_barrier_wait -1
	global_inv scope:SCOPE_SE
	s_and_saveexec_b32 s0, vcc_lo
	s_cbranch_execz .LBB0_7
; %bb.6:
	ds_load_2addr_b32 v[9:10], v33 offset1:27
	ds_load_2addr_b32 v[13:14], v33 offset0:54 offset1:81
	ds_load_2addr_b32 v[19:20], v33 offset0:108 offset1:135
	;; [unrolled: 1-line block ×4, first 2 shown]
	ds_load_b32 v24, v33 offset:1080
	s_wait_dscnt 0x5
	v_lshrrev_b32_e32 v22, 16, v9
	v_lshrrev_b32_e32 v61, 16, v10
	s_wait_dscnt 0x4
	v_lshrrev_b32_e32 v50, 16, v13
	v_lshrrev_b32_e32 v51, 16, v14
	;; [unrolled: 3-line block ×5, first 2 shown]
	s_wait_dscnt 0x0
	v_lshrrev_b32_e32 v25, 16, v24
	v_mov_b32_e32 v21, v17
.LBB0_7:
	s_wait_alu 0xfffe
	s_or_b32 exec_lo, exec_lo, s0
	s_and_saveexec_b32 s0, vcc_lo
	s_cbranch_execz .LBB0_9
; %bb.8:
	v_mul_f16_e32 v17, v70, v25
	v_mul_f16_e32 v52, v69, v61
	;; [unrolled: 1-line block ×5, first 2 shown]
	v_fmac_f16_e32 v17, v16, v24
	v_mul_f16_e32 v24, v67, v50
	v_fmac_f16_e32 v52, v4, v10
	v_fma_f16 v16, v16, v25, -v53
	v_fma_f16 v25, v4, v61, -v54
	v_fmac_f16_e32 v62, v15, v18
	v_fmac_f16_e32 v24, v5, v13
	v_mul_f16_e32 v13, v67, v13
	v_sub_f16_e32 v10, v52, v17
	v_mul_f16_e32 v18, v68, v18
	v_mul_f16_e32 v61, v66, v28
	v_add_f16_e32 v54, v16, v25
	v_fma_f16 v5, v5, v50, -v13
	v_mul_f16_e32 v50, v65, v51
	v_mul_f16_e32 v53, 0xbbeb, v10
	v_sub_f16_e32 v4, v24, v62
	v_fma_f16 v15, v15, v23, -v18
	v_fmac_f16_e32 v61, v3, v21
	v_fmac_f16_e32 v50, v6, v14
	v_mul_f16_e32 v21, v66, v21
	v_mul_f16_e32 v14, v65, v14
	;; [unrolled: 1-line block ×4, first 2 shown]
	v_fmamk_f16 v13, v54, 0xb08e, v53
	v_mul_f16_e32 v18, 0x3482, v4
	v_add_f16_e32 v23, v15, v5
	v_sub_f16_e32 v66, v50, v61
	v_fma_f16 v3, v3, v28, -v21
	v_fma_f16 v6, v6, v51, -v14
	v_fmac_f16_e32 v64, v7, v19
	v_fmac_f16_e32 v65, v2, v12
	v_mul_f16_e32 v12, v58, v12
	v_mul_f16_e32 v14, v57, v19
	v_add_f16_e32 v13, v22, v13
	v_fmamk_f16 v63, v23, 0xbbad, v18
	v_mul_f16_e32 v19, 0x3b47, v66
	v_add_f16_e32 v21, v3, v6
	v_sub_f16_e32 v28, v64, v65
	v_fma_f16 v2, v2, v60, -v12
	v_fma_f16 v7, v7, v59, -v14
	v_add_f16_e32 v12, v63, v13
	v_fmamk_f16 v13, v21, 0x36a6, v19
	v_mul_f16_e32 v14, 0xb853, v28
	v_mul_f16_e32 v57, v55, v26
	v_add_f16_e32 v51, v2, v7
	v_mul_f16_e32 v58, v56, v27
	v_add_f16_e32 v12, v13, v12
	v_sub_f16_e32 v60, v5, v15
	v_fmac_f16_e32 v57, v0, v20
	v_fmamk_f16 v13, v51, 0x3abb, v14
	v_fmac_f16_e32 v58, v1, v11
	v_mul_f16_e32 v11, v56, v11
	v_mul_f16_e32 v20, v55, v20
	v_add_f16_e32 v55, v17, v52
	v_add_f16_e32 v12, v13, v12
	v_sub_f16_e32 v13, v25, v16
	v_sub_f16_e32 v59, v57, v58
	v_fma_f16 v1, v1, v27, -v11
	v_fma_f16 v0, v0, v26, -v20
	v_add_f16_e32 v20, v62, v24
	v_mul_f16_e32 v56, 0xbbeb, v13
	v_mul_f16_e32 v26, 0x3482, v60
	;; [unrolled: 1-line block ×3, first 2 shown]
	v_sub_f16_e32 v63, v6, v3
	v_add_f16_e32 v67, v1, v0
	v_fma_f16 v11, v55, 0xb08e, -v56
	v_fma_f16 v68, v20, 0xbbad, -v26
	v_add_f16_e32 v69, v61, v50
	v_mul_f16_e32 v70, 0x3b47, v63
	v_fmamk_f16 v71, v67, 0xb93d, v27
	v_add_f16_e32 v11, v9, v11
	v_add_f16_e32 v73, v65, v64
	v_mul_f16_e32 v76, 0x3beb, v4
	v_fma_f16 v72, v69, 0x36a6, -v70
	v_add_f16_e32 v12, v71, v12
	v_add_f16_e32 v11, v68, v11
	v_sub_f16_e32 v68, v7, v2
	v_mul_f16_e32 v71, 0xba0c, v10
	v_fma_f16 v53, v54, 0xb08e, -v53
	v_add_f16_e32 v78, v58, v57
	v_add_f16_e32 v11, v72, v11
	v_mul_f16_e32 v74, 0xb853, v68
	v_sub_f16_e32 v72, v0, v1
	v_fmamk_f16 v75, v54, 0xb93d, v71
	v_fma_f16 v71, v54, 0xb93d, -v71
	v_fmamk_f16 v80, v23, 0xb08e, v76
	v_fma_f16 v77, v73, 0x3abb, -v74
	v_mul_f16_e32 v79, 0xba0c, v72
	v_add_f16_e32 v75, v22, v75
	v_mul_f16_e32 v81, 0xb853, v66
	v_add_f16_e32 v71, v22, v71
	v_fma_f16 v76, v23, 0xb08e, -v76
	v_add_f16_e32 v53, v22, v53
	v_fma_f16 v18, v23, 0xbbad, -v18
	;; [unrolled: 2-line block ×3, first 2 shown]
	v_mul_f16_e32 v82, 0xba0c, v13
	v_add_f16_e32 v75, v80, v75
	v_fmamk_f16 v80, v21, 0x3abb, v81
	v_mul_f16_e32 v83, 0xb482, v28
	v_add_f16_e32 v71, v76, v71
	v_fma_f16 v76, v21, 0x3abb, -v81
	v_fmac_f16_e32 v56, 0xb08e, v55
	v_add_f16_e32 v18, v18, v53
	v_fma_f16 v19, v21, 0x36a6, -v19
	v_add_f16_e32 v11, v77, v11
	v_fma_f16 v77, v55, 0xb93d, -v82
	v_mul_f16_e32 v84, 0x3beb, v60
	v_add_f16_e32 v75, v80, v75
	v_fmamk_f16 v80, v51, 0xbbad, v83
	v_mul_f16_e32 v85, 0x3b47, v59
	v_fmac_f16_e32 v82, 0xb93d, v55
	v_add_f16_e32 v71, v76, v71
	v_fma_f16 v76, v51, 0xbbad, -v83
	v_add_f16_e32 v56, v9, v56
	v_fmac_f16_e32 v26, 0xbbad, v20
	v_add_f16_e32 v18, v19, v18
	v_fma_f16 v14, v51, 0x3abb, -v14
	v_mul_f16_e32 v19, 0x36a6, v54
	v_add_f16_e32 v77, v9, v77
	v_fma_f16 v86, v20, 0xb08e, -v84
	v_mul_f16_e32 v87, 0xb853, v63
	v_add_f16_e32 v75, v80, v75
	v_fmamk_f16 v80, v67, 0x36a6, v85
	v_mul_f16_e32 v88, 0xb482, v10
	v_add_f16_e32 v82, v9, v82
	v_fmac_f16_e32 v84, 0xb08e, v20
	v_add_f16_e32 v71, v76, v71
	v_fma_f16 v76, v67, 0x36a6, -v85
	v_add_f16_e32 v26, v26, v56
	v_fmac_f16_e32 v70, 0x36a6, v69
	v_add_f16_e32 v14, v14, v18
	v_fmamk_f16 v18, v10, 0x3b47, v19
	v_mul_f16_e32 v56, 0xb93d, v23
	v_add_f16_e32 v77, v86, v77
	v_fma_f16 v86, v69, 0x3abb, -v87
	v_mul_f16_e32 v89, 0xb482, v68
	v_add_f16_e32 v75, v80, v75
	v_fmamk_f16 v80, v54, 0xbbad, v88
	v_mul_f16_e32 v90, 0x3853, v4
	v_fma_f16 v88, v54, 0xbbad, -v88
	v_add_f16_e32 v82, v84, v82
	v_fmac_f16_e32 v87, 0x3abb, v69
	v_add_f16_e32 v71, v76, v71
	v_fma_f16 v27, v67, 0xb93d, -v27
	v_add_f16_e32 v26, v70, v26
	v_fmac_f16_e32 v74, 0x3abb, v73
	v_add_f16_e32 v18, v22, v18
	v_fmamk_f16 v70, v4, 0x3a0c, v56
	v_mul_f16_e32 v76, 0xbbad, v21
	v_add_f16_e32 v77, v86, v77
	v_fma_f16 v86, v73, 0xbbad, -v89
	v_fmamk_f16 v92, v23, 0x3abb, v90
	v_mul_f16_e32 v93, 0xba0c, v66
	v_add_f16_e32 v88, v22, v88
	v_fma_f16 v90, v23, 0x3abb, -v90
	v_add_f16_e32 v82, v87, v82
	v_fmac_f16_e32 v89, 0xbbad, v73
	v_add_f16_e32 v14, v27, v14
	v_add_f16_e32 v26, v74, v26
	v_mul_f16_e32 v27, 0xbb47, v13
	v_add_f16_e32 v18, v70, v18
	v_fmamk_f16 v70, v66, 0xb482, v76
	v_mul_f16_e32 v74, 0xb08e, v51
	v_mul_f16_e32 v95, 0x3b47, v28
	v_add_f16_e32 v88, v90, v88
	v_fma_f16 v90, v21, 0xb93d, -v93
	v_add_f16_e32 v53, v89, v82
	v_fmac_f16_e32 v79, 0xb93d, v78
	v_fmamk_f16 v82, v55, 0x36a6, v27
	v_mul_f16_e32 v83, 0xba0c, v60
	v_add_f16_e32 v18, v70, v18
	v_fmamk_f16 v70, v28, 0xbbeb, v74
	v_mul_f16_e32 v97, 0xbbeb, v59
	v_add_f16_e32 v88, v90, v88
	v_fma_f16 v90, v51, 0x36a6, -v95
	v_add_f16_e32 v26, v79, v26
	v_add_f16_e32 v79, v9, v82
	v_fmamk_f16 v82, v20, 0xb93d, v83
	v_mul_f16_e32 v84, 0x3482, v63
	v_add_f16_e32 v18, v70, v18
	v_mul_f16_e32 v54, 0x3abb, v54
	v_mul_f16_e32 v70, 0x3abb, v67
	v_add_f16_e32 v88, v90, v88
	v_fma_f16 v90, v67, 0xb08e, -v97
	v_add_f16_e32 v79, v82, v79
	v_fmamk_f16 v82, v69, 0xbbad, v84
	v_mul_f16_e32 v85, 0x3beb, v68
	v_fmamk_f16 v87, v10, 0x3853, v54
	v_mul_f16_e32 v23, 0x36a6, v23
	v_fmamk_f16 v89, v59, 0xb853, v70
	v_add_f16_e32 v52, v9, v52
	v_add_f16_e32 v88, v90, v88
	;; [unrolled: 1-line block ×3, first 2 shown]
	v_fmamk_f16 v82, v73, 0xb08e, v85
	v_add_f16_e32 v87, v22, v87
	v_fmamk_f16 v90, v4, 0x3b47, v23
	v_add_f16_e32 v18, v89, v18
	v_mul_f16_e32 v89, 0x3853, v72
	v_add_f16_e32 v25, v25, v22
	v_add_f16_e32 v24, v24, v52
	v_mul_f16_e32 v94, 0xb482, v13
	v_add_f16_e32 v79, v82, v79
	v_add_f16_e32 v82, v90, v87
	v_fmamk_f16 v90, v78, 0x3abb, v89
	v_mul_f16_e32 v13, 0xb853, v13
	v_add_f16_e32 v5, v5, v25
	v_add_f16_e32 v24, v50, v24
	v_mul_f16_e32 v91, 0x3b47, v72
	v_add_f16_e32 v25, v90, v79
	v_fmamk_f16 v79, v55, 0x3abb, v13
	v_add_f16_e32 v5, v6, v5
	v_mul_f16_e32 v6, 0xbb47, v60
	v_add_f16_e32 v24, v64, v24
	v_mul_f16_e32 v96, 0x3853, v60
	v_mul_f16_e32 v99, 0xba0c, v63
	v_add_f16_e32 v60, v9, v79
	v_add_f16_e32 v5, v7, v5
	v_fmamk_f16 v7, v20, 0x36a6, v6
	v_mul_f16_e32 v63, 0xbbeb, v63
	v_add_f16_e32 v24, v57, v24
	v_add_f16_e32 v80, v22, v80
	;; [unrolled: 1-line block ×3, first 2 shown]
	v_fma_f16 v86, v78, 0x36a6, -v91
	v_add_f16_e32 v0, v0, v5
	v_add_f16_e32 v5, v7, v60
	v_fmamk_f16 v7, v69, 0xb08e, v63
	v_add_f16_e32 v24, v58, v24
	v_add_f16_e32 v80, v92, v80
	v_fmamk_f16 v92, v21, 0xb93d, v93
	v_add_f16_e32 v77, v86, v77
	v_fma_f16 v86, v55, 0xbbad, -v94
	v_add_f16_e32 v0, v1, v0
	v_fmac_f16_e32 v19, 0xbb47, v10
	v_add_f16_e32 v1, v7, v5
	v_mul_f16_e32 v5, 0xba0c, v68
	v_add_f16_e32 v7, v65, v24
	v_add_f16_e32 v80, v92, v80
	v_fmamk_f16 v92, v51, 0x36a6, v95
	v_add_f16_e32 v86, v9, v86
	v_fma_f16 v98, v20, 0x3abb, -v96
	v_add_f16_e32 v0, v2, v0
	v_add_f16_e32 v2, v22, v19
	v_fmamk_f16 v19, v73, 0xb93d, v5
	v_mul_f16_e32 v24, 0xb482, v72
	v_add_f16_e32 v7, v61, v7
	v_add_f16_e32 v80, v92, v80
	v_fmamk_f16 v92, v67, 0xb08e, v97
	v_add_f16_e32 v86, v98, v86
	v_fma_f16 v98, v69, 0xb93d, -v99
	v_mul_f16_e32 v100, 0x3b47, v68
	v_add_f16_e32 v0, v3, v0
	v_add_f16_e32 v1, v19, v1
	v_fmamk_f16 v3, v78, 0xbbad, v24
	v_add_f16_e32 v7, v62, v7
	v_add_f16_e32 v80, v92, v80
	v_add_f16_e32 v86, v98, v86
	v_fma_f16 v92, v73, 0x36a6, -v100
	v_mul_f16_e32 v98, 0xbbeb, v72
	v_fmac_f16_e32 v94, 0xbbad, v55
	v_add_f16_e32 v1, v3, v1
	v_add_f16_e32 v3, v17, v7
	v_fma_f16 v7, v55, 0x36a6, -v27
	v_fmac_f16_e32 v54, 0xb853, v10
	v_fma_f16 v10, v55, 0x3abb, -v13
	v_mul_f16_e32 v21, 0xb08e, v21
	v_add_f16_e32 v86, v92, v86
	v_fma_f16 v92, v78, 0xb08e, -v98
	v_add_f16_e32 v93, v9, v94
	v_fmac_f16_e32 v96, 0x3abb, v20
	v_fmac_f16_e32 v56, 0xba0c, v4
	v_add_f16_e32 v0, v15, v0
	v_add_f16_e32 v7, v9, v7
	v_fma_f16 v13, v20, 0xb93d, -v83
	v_add_f16_e32 v15, v22, v54
	v_fmac_f16_e32 v23, 0xbb47, v4
	v_add_f16_e32 v4, v9, v10
	v_fma_f16 v6, v20, 0x36a6, -v6
	v_fmamk_f16 v87, v66, 0x3beb, v21
	v_mul_f16_e32 v51, 0xb93d, v51
	v_add_f16_e32 v86, v92, v86
	v_add_f16_e32 v92, v96, v93
	v_fmac_f16_e32 v99, 0xb93d, v69
	v_add_f16_e32 v2, v56, v2
	v_fmac_f16_e32 v76, 0x3482, v66
	v_add_f16_e32 v7, v13, v7
	v_fma_f16 v9, v69, 0xbbad, -v84
	v_add_f16_e32 v10, v23, v15
	v_fmac_f16_e32 v21, 0xbbeb, v66
	v_add_f16_e32 v4, v6, v4
	v_fma_f16 v6, v69, 0xb08e, -v63
	v_add_f16_e32 v82, v87, v82
	v_fmamk_f16 v87, v28, 0x3a0c, v51
	v_mul_f16_e32 v50, 0xbbad, v67
	v_add_f16_e32 v92, v99, v92
	v_fmac_f16_e32 v100, 0x36a6, v73
	v_add_f16_e32 v2, v76, v2
	v_fmac_f16_e32 v74, 0x3beb, v28
	v_add_f16_e32 v0, v16, v0
	v_add_f16_e32 v7, v9, v7
	v_fma_f16 v9, v73, 0xb08e, -v85
	v_add_f16_e32 v10, v21, v10
	v_fmac_f16_e32 v51, 0xba0c, v28
	v_add_f16_e32 v4, v6, v4
	v_fma_f16 v5, v73, 0xb93d, -v5
	v_add_f16_e32 v52, v87, v82
	v_fmamk_f16 v64, v59, 0x3482, v50
	v_fmac_f16_e32 v91, 0x36a6, v78
	v_add_f16_e32 v81, v100, v92
	v_fmac_f16_e32 v98, 0xb08e, v78
	v_add_f16_e32 v2, v74, v2
	;; [unrolled: 2-line block ×3, first 2 shown]
	v_fma_f16 v7, v78, 0x3abb, -v89
	v_add_f16_e32 v9, v51, v10
	v_fmac_f16_e32 v50, 0xb482, v59
	v_add_f16_e32 v4, v5, v4
	v_fma_f16 v5, v78, 0xbbad, -v24
	v_pack_b32_f16 v0, v3, v0
	v_add_f16_e32 v52, v64, v52
	v_add_f16_e32 v53, v91, v53
	;; [unrolled: 1-line block ×7, first 2 shown]
	ds_store_b32 v33, v0
	v_lshl_add_u32 v0, v40, 2, v49
	v_pack_b32_f16 v1, v1, v52
	v_pack_b32_f16 v5, v25, v18
	;; [unrolled: 1-line block ×10, first 2 shown]
	v_add_nc_u32_e32 v4, 0x200, v0
	ds_store_2addr_b32 v0, v1, v5 offset0:27 offset1:54
	ds_store_2addr_b32 v0, v7, v9 offset0:81 offset1:108
	;; [unrolled: 1-line block ×5, first 2 shown]
.LBB0_9:
	s_wait_alu 0xfffe
	s_or_b32 exec_lo, exec_lo, s0
	global_wb scope:SCOPE_SE
	s_wait_dscnt 0x0
	s_barrier_signal -1
	s_barrier_wait -1
	global_inv scope:SCOPE_SE
	ds_load_2addr_b32 v[0:1], v33 offset1:33
	ds_load_2addr_b32 v[2:3], v33 offset0:66 offset1:99
	s_mov_b32 s8, 0x2b18ff23
	s_mov_b32 s9, 0x3f6b951e
	v_mad_co_u64_u32 v[15:16], null, s4, v40, 0
	s_wait_dscnt 0x1
	v_lshrrev_b32_e32 v4, 16, v0
	v_mul_f16_e32 v5, v48, v0
	v_lshrrev_b32_e32 v6, 16, v1
	v_mul_f16_e32 v7, v47, v1
	s_wait_dscnt 0x0
	v_lshrrev_b32_e32 v13, 16, v2
	v_mul_f16_e32 v9, v48, v4
	v_fma_f16 v5, v43, v4, -v5
	v_mul_f16_e32 v10, v47, v6
	v_fma_f16 v4, v44, v6, -v7
	v_mul_f16_e32 v11, v46, v13
	v_fmac_f16_e32 v9, v43, v0
	v_cvt_f32_f16_e32 v5, v5
	v_fmac_f16_e32 v10, v44, v1
	v_cvt_f32_f16_e32 v0, v4
	;; [unrolled: 2-line block ×3, first 2 shown]
	v_cvt_f64_f32_e32 v[4:5], v5
	v_mul_f16_e32 v2, v46, v2
	v_cvt_f64_f32_e32 v[6:7], v0
	v_cvt_f32_f16_e32 v11, v11
	v_cvt_f64_f32_e32 v[0:1], v9
	v_cvt_f32_f16_e32 v9, v10
	v_fma_f16 v2, v42, v13, -v2
	v_mad_co_u64_u32 v[13:14], null, s6, v8, 0
	v_cvt_f64_f32_e32 v[11:12], v11
	s_delay_alu instid0(VALU_DEP_4) | instskip(NEXT) | instid1(VALU_DEP_4)
	v_cvt_f64_f32_e32 v[9:10], v9
	v_cvt_f32_f16_e32 v2, v2
	s_delay_alu instid0(VALU_DEP_1) | instskip(SKIP_2) | instid1(VALU_DEP_2)
	v_cvt_f64_f32_e32 v[17:18], v2
	v_mov_b32_e32 v2, v14
	v_mov_b32_e32 v14, v16
	v_mad_co_u64_u32 v[19:20], null, s7, v8, v[2:3]
	s_delay_alu instid0(VALU_DEP_2) | instskip(SKIP_1) | instid1(VALU_DEP_2)
	v_mad_co_u64_u32 v[20:21], null, s5, v40, v[14:15]
	v_lshrrev_b32_e32 v2, 16, v3
	v_mov_b32_e32 v16, v20
	s_delay_alu instid0(VALU_DEP_1)
	v_lshlrev_b64_e32 v[15:16], 2, v[15:16]
	s_wait_alu 0xfffe
	v_mul_f64_e32 v[4:5], s[8:9], v[4:5]
	v_mul_f64_e32 v[6:7], s[8:9], v[6:7]
	;; [unrolled: 1-line block ×5, first 2 shown]
	v_and_or_b32 v4, 0x1ff, v5, v4
	v_and_or_b32 v6, 0x1ff, v7, v6
	v_bfe_u32 v21, v7, 20, 11
	v_bfe_u32 v23, v1, 20, 11
	v_mov_b32_e32 v14, v19
	v_mul_f16_e32 v19, v45, v2
	v_and_or_b32 v0, 0x1ff, v1, v0
	v_lshrrev_b32_e32 v20, 8, v7
	v_sub_nc_u32_e32 v42, 0x3f1, v23
	v_add_nc_u32_e32 v23, 0xfffffc10, v23
	v_lshlrev_b64_e32 v[13:14], 2, v[13:14]
	v_fmac_f16_e32 v19, v38, v3
	v_and_or_b32 v8, 0x1ff, v9, v8
	v_and_or_b32 v10, 0x1ff, v11, v10
	v_lshrrev_b32_e32 v22, 8, v1
	v_sub_nc_u32_e32 v27, 0x3f1, v21
	v_add_co_u32 v12, vcc_lo, s2, v13
	s_wait_alu 0xfffd
	v_add_co_ci_u32_e32 v13, vcc_lo, s3, v14, vcc_lo
	v_cvt_f32_f16_e32 v14, v19
	s_delay_alu instid0(VALU_DEP_3) | instskip(SKIP_1) | instid1(VALU_DEP_3)
	v_add_co_u32 v12, vcc_lo, v12, v15
	s_wait_alu 0xfffd
	v_add_co_ci_u32_e32 v13, vcc_lo, v13, v16, vcc_lo
	v_cmp_ne_u32_e32 vcc_lo, 0, v4
	v_mul_f64_e32 v[16:17], s[8:9], v[17:18]
	v_lshrrev_b32_e32 v18, 8, v5
	v_bfe_u32 v19, v5, 20, 11
	v_lshrrev_b32_e32 v25, 8, v9
	s_wait_alu 0xfffd
	v_cndmask_b32_e64 v4, 0, 1, vcc_lo
	v_cmp_ne_u32_e32 vcc_lo, 0, v6
	v_bfe_u32 v26, v9, 20, 11
	v_sub_nc_u32_e32 v24, 0x3f1, v19
	v_add_nc_u32_e32 v19, 0xfffffc10, v19
	v_and_or_b32 v4, 0xffe, v18, v4
	s_wait_alu 0xfffd
	v_cndmask_b32_e64 v6, 0, 1, vcc_lo
	v_cmp_ne_u32_e32 vcc_lo, 0, v0
	v_med3_i32 v18, v24, 0, 13
	v_sub_nc_u32_e32 v24, 0x3f1, v26
	v_add_nc_u32_e32 v26, 0xfffffc10, v26
	v_and_or_b32 v6, 0xffe, v20, v6
	s_wait_alu 0xfffd
	v_cndmask_b32_e64 v0, 0, 1, vcc_lo
	v_cmp_ne_u32_e32 vcc_lo, 0, v8
	v_med3_i32 v20, v27, 0, 13
	v_or_b32_e32 v27, 0x1000, v4
	v_med3_i32 v24, v24, 0, 13
	v_and_or_b32 v0, 0xffe, v22, v0
	s_wait_alu 0xfffd
	v_cndmask_b32_e64 v8, 0, 1, vcc_lo
	v_cmp_ne_u32_e32 vcc_lo, 0, v10
	v_med3_i32 v22, v42, 0, 13
	v_lshl_or_b32 v42, v19, 12, v4
	v_or_b32_e32 v44, 0x1000, v0
	v_and_or_b32 v8, 0xffe, v25, v8
	s_wait_alu 0xfffd
	v_cndmask_b32_e64 v10, 0, 1, vcc_lo
	v_cmp_ne_u32_e32 vcc_lo, 0, v4
	v_lshrrev_b32_e32 v47, v18, v27
	v_or_b32_e32 v25, 0x1000, v6
	v_lshl_or_b32 v46, v23, 12, v0
	v_lshrrev_b32_e32 v51, v22, v44
	s_wait_alu 0xfffd
	v_cndmask_b32_e64 v4, 0, 1, vcc_lo
	v_cmp_ne_u32_e32 vcc_lo, 0, v0
	v_lshlrev_b32_e32 v18, v18, v47
	v_or_b32_e32 v48, 0x1000, v8
	v_lshl_or_b32 v49, v26, 12, v8
	v_lshrrev_b32_e32 v50, v20, v25
	s_wait_alu 0xfffd
	v_cndmask_b32_e64 v0, 0, 1, vcc_lo
	v_cmp_ne_u32_e32 vcc_lo, 0, v8
	v_lshlrev_b32_e32 v22, v22, v51
	v_lshrrev_b32_e32 v52, v24, v48
	v_lshlrev_b32_e32 v20, v20, v50
	v_add_nc_u32_e32 v21, 0xfffffc10, v21
	s_wait_alu 0xfffd
	v_cndmask_b32_e64 v8, 0, 1, vcc_lo
	v_cmp_ne_u32_e32 vcc_lo, v18, v27
	v_lshlrev_b32_e32 v24, v24, v52
	v_lshl_or_b32 v0, v0, 9, 0x7c00
	v_lshl_or_b32 v43, v21, 12, v6
	;; [unrolled: 1-line block ×3, first 2 shown]
	s_wait_alu 0xfffd
	v_cndmask_b32_e64 v18, 0, 1, vcc_lo
	v_cmp_ne_u32_e32 vcc_lo, v22, v44
	v_lshrrev_b32_e32 v1, 16, v1
	v_cvt_f64_f32_e32 v[14:15], v14
	v_lshrrev_b32_e32 v5, 16, v5
	v_or_b32_e32 v18, v47, v18
	s_wait_alu 0xfffd
	v_cndmask_b32_e64 v22, 0, 1, vcc_lo
	v_cmp_ne_u32_e32 vcc_lo, v20, v25
	v_lshl_or_b32 v8, v8, 9, 0x7c00
	v_lshrrev_b32_e32 v28, 8, v11
	v_bfe_u32 v40, v11, 20, 11
	v_or_b32_e32 v22, v51, v22
	s_wait_alu 0xfffd
	v_cndmask_b32_e64 v20, 0, 1, vcc_lo
	v_cmp_ne_u32_e32 vcc_lo, v24, v48
	v_and_or_b32 v10, 0xffe, v28, v10
	v_mul_f16_e32 v3, v45, v3
	v_lshrrev_b32_e32 v9, 16, v9
	v_or_b32_e32 v20, v50, v20
	s_wait_alu 0xfffd
	v_cndmask_b32_e64 v24, 0, 1, vcc_lo
	v_cmp_gt_i32_e32 vcc_lo, 1, v19
	v_lshrrev_b32_e32 v7, 16, v7
	s_delay_alu instid0(VALU_DEP_3) | instskip(SKIP_3) | instid1(VALU_DEP_2)
	v_or_b32_e32 v24, v52, v24
	s_wait_alu 0xfffd
	v_cndmask_b32_e32 v18, v42, v18, vcc_lo
	v_cmp_gt_i32_e32 vcc_lo, 1, v23
	v_and_b32_e32 v25, 7, v18
	s_wait_alu 0xfffd
	v_cndmask_b32_e32 v22, v46, v22, vcc_lo
	v_cmp_gt_i32_e32 vcc_lo, 1, v21
	s_delay_alu instid0(VALU_DEP_3) | instskip(SKIP_1) | instid1(VALU_DEP_3)
	v_cmp_lt_i32_e64 s1, 5, v25
	s_wait_alu 0xfffd
	v_dual_cndmask_b32 v20, v43, v20 :: v_dual_and_b32 v27, 7, v22
	v_cmp_gt_i32_e32 vcc_lo, 1, v26
	v_lshrrev_b32_e32 v22, 2, v22
	v_cmp_eq_u32_e64 s2, 3, v25
	s_delay_alu instid0(VALU_DEP_4) | instskip(SKIP_3) | instid1(VALU_DEP_2)
	v_cmp_eq_u32_e64 s0, 3, v27
	s_wait_alu 0xfffd
	v_cndmask_b32_e32 v24, v49, v24, vcc_lo
	v_cmp_lt_i32_e32 vcc_lo, 5, v27
	v_and_b32_e32 v25, 7, v24
	v_lshrrev_b32_e32 v18, 2, v18
	s_or_b32 vcc_lo, s0, vcc_lo
	v_cmp_gt_i32_e64 s0, 31, v23
	s_wait_alu 0xfffe
	v_add_co_ci_u32_e32 v22, vcc_lo, 0, v22, vcc_lo
	s_or_b32 vcc_lo, s2, s1
	v_cmp_gt_i32_e64 s1, 31, v19
	s_wait_alu 0xfffe
	v_add_co_ci_u32_e32 v18, vcc_lo, 0, v18, vcc_lo
	v_cmp_lt_i32_e32 vcc_lo, 5, v25
	v_cndmask_b32_e64 v22, 0x7c00, v22, s0
	v_cmp_eq_u32_e64 s0, 3, v25
	v_lshrrev_b32_e32 v24, 2, v24
	s_wait_alu 0xf1ff
	v_cndmask_b32_e64 v18, 0x7c00, v18, s1
	v_cmp_eq_u32_e64 s1, 0x40f, v23
	s_mul_u64 s[2:3], s[4:5], 0x84
	s_or_b32 vcc_lo, s0, vcc_lo
	v_cmp_eq_u32_e64 s0, 0x40f, v26
	s_delay_alu instid0(VALU_DEP_2)
	v_cndmask_b32_e64 v0, v22, v0, s1
	s_wait_alu 0xfffe
	v_add_co_ci_u32_e32 v22, vcc_lo, 0, v24, vcc_lo
	v_cmp_eq_u32_e32 vcc_lo, 0x40f, v19
	v_add_nc_u32_e32 v19, 0xfffffc10, v40
	v_and_or_b32 v0, 0x8000, v1, v0
	v_and_b32_e32 v1, 7, v20
	s_wait_alu 0xfffd
	v_cndmask_b32_e32 v4, v18, v4, vcc_lo
	v_cmp_gt_i32_e32 vcc_lo, 31, v26
	v_and_b32_e32 v0, 0xffff, v0
	s_delay_alu instid0(VALU_DEP_3)
	v_and_or_b32 v4, 0x8000, v5, v4
	s_wait_alu 0xfffd
	v_cndmask_b32_e32 v18, 0x7c00, v22, vcc_lo
	v_cmp_lt_i32_e32 vcc_lo, 5, v1
	v_bfe_u32 v22, v17, 20, 11
	s_wait_alu 0xf1ff
	s_delay_alu instid0(VALU_DEP_3)
	v_cndmask_b32_e64 v5, v18, v8, s0
	v_cmp_eq_u32_e64 s0, 3, v1
	v_lshrrev_b32_e32 v1, 2, v20
	v_lshl_or_b32 v8, v4, 16, v0
	v_sub_nc_u32_e32 v0, 0x3f1, v40
	v_or_b32_e32 v4, 0x1000, v10
	s_or_b32 vcc_lo, s0, vcc_lo
	v_and_or_b32 v9, 0x8000, v9, v5
	s_wait_alu 0xfffe
	v_add_co_ci_u32_e32 v1, vcc_lo, 0, v1, vcc_lo
	v_med3_i32 v18, v0, 0, 13
	v_cmp_ne_u32_e32 vcc_lo, 0, v6
	v_fma_f16 v0, v38, v2, -v3
	v_and_b32_e32 v9, 0xffff, v9
	global_store_b32 v[12:13], v8, off
	v_lshrrev_b32_e32 v6, v18, v4
	s_wait_alu 0xfffd
	v_cndmask_b32_e64 v2, 0, 1, vcc_lo
	v_cmp_gt_i32_e32 vcc_lo, 31, v21
	v_cvt_f32_f16_e32 v0, v0
	v_lshlrev_b32_e32 v5, v18, v6
	s_delay_alu instid0(VALU_DEP_4)
	v_lshl_or_b32 v2, v2, 9, 0x7c00
	s_wait_alu 0xfffd
	v_cndmask_b32_e32 v3, 0x7c00, v1, vcc_lo
	v_cmp_eq_u32_e32 vcc_lo, 0x40f, v21
	v_cvt_f64_f32_e32 v[0:1], v0
	v_lshrrev_b32_e32 v21, 8, v17
	s_wait_alu 0xfffd
	v_cndmask_b32_e32 v18, v3, v2, vcc_lo
	v_and_or_b32 v2, 0x1ff, v17, v16
	v_cmp_ne_u32_e32 vcc_lo, v5, v4
	ds_load_2addr_b32 v[4:5], v33 offset0:132 offset1:165
	v_and_or_b32 v7, 0x8000, v7, v18
	s_wait_alu 0xfffd
	v_cndmask_b32_e64 v16, 0, 1, vcc_lo
	v_cmp_ne_u32_e32 vcc_lo, 0, v2
	v_mul_f64_e32 v[2:3], s[8:9], v[14:15]
	v_lshl_or_b32 v14, v19, 12, v10
	s_delay_alu instid0(VALU_DEP_4) | instskip(SKIP_4) | instid1(VALU_DEP_3)
	v_or_b32_e32 v6, v6, v16
	s_wait_alu 0xfffd
	v_cndmask_b32_e64 v20, 0, 1, vcc_lo
	v_sub_nc_u32_e32 v16, 0x3f1, v22
	v_cmp_gt_i32_e32 vcc_lo, 1, v19
	v_and_or_b32 v15, 0xffe, v21, v20
	s_delay_alu instid0(VALU_DEP_3) | instskip(SKIP_1) | instid1(VALU_DEP_3)
	v_med3_i32 v16, v16, 0, 13
	v_lshl_or_b32 v20, v7, 16, v9
	v_or_b32_e32 v18, 0x1000, v15
	s_delay_alu instid0(VALU_DEP_1)
	v_lshrrev_b32_e32 v9, v16, v18
	v_mul_f64_e32 v[0:1], s[8:9], v[0:1]
	v_bfe_u32 v21, v3, 20, 11
	s_wait_alu 0xfffd
	v_cndmask_b32_e32 v14, v14, v6, vcc_lo
	v_add_co_u32 v6, vcc_lo, v12, s2
	s_wait_alu 0xfffd
	v_add_co_ci_u32_e32 v7, vcc_lo, s3, v13, vcc_lo
	s_delay_alu instid0(VALU_DEP_3)
	v_and_b32_e32 v8, 7, v14
	v_lshlrev_b32_e32 v13, v16, v9
	v_lshrrev_b32_e32 v14, 2, v14
	v_add_nc_u32_e32 v16, 0xfffffc10, v22
	s_wait_dscnt 0x0
	v_lshrrev_b32_e32 v12, 16, v4
	v_cmp_lt_i32_e32 vcc_lo, 5, v8
	v_cmp_eq_u32_e64 s0, 3, v8
	v_cmp_ne_u32_e64 s1, v13, v18
	v_lshl_or_b32 v18, v16, 12, v15
	v_and_or_b32 v2, 0x1ff, v3, v2
	v_mul_f16_e32 v8, v41, v12
	s_or_b32 vcc_lo, s0, vcc_lo
	v_cndmask_b32_e64 v13, 0, 1, s1
	s_wait_alu 0xfffe
	v_add_co_ci_u32_e32 v14, vcc_lo, 0, v14, vcc_lo
	v_cmp_ne_u32_e32 vcc_lo, 0, v10
	v_fmac_f16_e32 v8, v36, v4
	v_or_b32_e32 v13, v9, v13
	v_mul_f16_e32 v4, v41, v4
	v_and_or_b32 v0, 0x1ff, v1, v0
	s_wait_alu 0xfffd
	v_cndmask_b32_e64 v10, 0, 1, vcc_lo
	v_cmp_gt_i32_e32 vcc_lo, 1, v16
	v_cvt_f32_f16_e32 v8, v8
	v_fma_f16 v4, v36, v12, -v4
	v_lshrrev_b32_e32 v12, 8, v1
	v_lshl_or_b32 v10, v10, 9, 0x7c00
	s_wait_alu 0xfffd
	v_cndmask_b32_e32 v13, v18, v13, vcc_lo
	v_cmp_ne_u32_e32 vcc_lo, 0, v2
	v_lshrrev_b32_e32 v18, 8, v3
	v_cvt_f64_f32_e32 v[8:9], v8
	v_cvt_f32_f16_e32 v4, v4
	v_and_b32_e32 v22, 7, v13
	s_wait_alu 0xfffd
	v_cndmask_b32_e64 v2, 0, 1, vcc_lo
	v_cmp_gt_i32_e32 vcc_lo, 31, v19
	global_store_b32 v[6:7], v20, off
	v_lshrrev_b32_e32 v3, 16, v3
	v_cmp_eq_u32_e64 s0, 3, v22
	v_and_or_b32 v2, 0xffe, v18, v2
	v_sub_nc_u32_e32 v18, 0x3f1, v21
	v_add_nc_u32_e32 v21, 0xfffffc10, v21
	s_delay_alu instid0(VALU_DEP_2)
	v_med3_i32 v18, v18, 0, 13
	s_wait_alu 0xfffd
	v_cndmask_b32_e32 v14, 0x7c00, v14, vcc_lo
	v_cmp_eq_u32_e32 vcc_lo, 0x40f, v19
	v_lshrrev_b32_e32 v19, 16, v11
	v_lshrrev_b32_e32 v11, 2, v13
	s_wait_alu 0xfffd
	v_cndmask_b32_e32 v14, v14, v10, vcc_lo
	v_or_b32_e32 v10, 0x1000, v2
	v_cmp_lt_i32_e32 vcc_lo, 5, v22
	s_delay_alu instid0(VALU_DEP_2) | instskip(SKIP_3) | instid1(VALU_DEP_2)
	v_lshrrev_b32_e32 v13, v18, v10
	s_or_b32 vcc_lo, s0, vcc_lo
	s_wait_alu 0xfffe
	v_add_co_ci_u32_e32 v22, vcc_lo, 0, v11, vcc_lo
	v_lshlrev_b32_e32 v11, v18, v13
	v_cmp_ne_u32_e32 vcc_lo, 0, v0
	v_bfe_u32 v18, v1, 20, 11
	s_wait_alu 0xfffd
	v_cndmask_b32_e64 v0, 0, 1, vcc_lo
	v_cmp_ne_u32_e32 vcc_lo, v11, v10
	v_cvt_f64_f32_e32 v[10:11], v4
	v_mul_f64_e32 v[8:9], s[8:9], v[8:9]
	s_delay_alu instid0(VALU_DEP_4)
	v_and_or_b32 v0, 0xffe, v12, v0
	s_wait_alu 0xfffd
	v_cndmask_b32_e64 v23, 0, 1, vcc_lo
	v_cmp_ne_u32_e32 vcc_lo, 0, v15
	v_sub_nc_u32_e32 v12, 0x3f1, v18
	v_lshl_or_b32 v15, v21, 12, v2
	v_add_nc_u32_e32 v18, 0xfffffc10, v18
	v_or_b32_e32 v13, v13, v23
	s_wait_alu 0xfffd
	v_cndmask_b32_e64 v4, 0, 1, vcc_lo
	v_cmp_gt_i32_e32 vcc_lo, 31, v16
	v_or_b32_e32 v23, 0x1000, v0
	v_med3_i32 v12, v12, 0, 13
	s_delay_alu instid0(VALU_DEP_4)
	v_lshl_or_b32 v4, v4, 9, 0x7c00
	s_wait_alu 0xfffd
	v_cndmask_b32_e32 v22, 0x7c00, v22, vcc_lo
	v_cmp_gt_i32_e32 vcc_lo, 1, v21
	s_wait_alu 0xfffd
	v_cndmask_b32_e32 v13, v15, v13, vcc_lo
	v_lshrrev_b32_e32 v15, v12, v23
	v_cmp_eq_u32_e32 vcc_lo, 0x40f, v16
	v_lshrrev_b32_e32 v16, 16, v17
	s_delay_alu instid0(VALU_DEP_4) | instskip(NEXT) | instid1(VALU_DEP_4)
	v_and_b32_e32 v17, 7, v13
	v_lshlrev_b32_e32 v12, v12, v15
	s_wait_alu 0xfffd
	v_cndmask_b32_e32 v4, v22, v4, vcc_lo
	v_and_or_b32 v14, 0x8000, v19, v14
	v_cmp_lt_i32_e32 vcc_lo, 5, v17
	v_cmp_ne_u32_e64 s0, v12, v23
	s_delay_alu instid0(VALU_DEP_4)
	v_and_or_b32 v16, 0x8000, v16, v4
	v_lshrrev_b32_e32 v12, 2, v13
	v_lshl_or_b32 v13, v18, 12, v0
	v_and_b32_e32 v14, 0xffff, v14
	s_wait_alu 0xf1ff
	v_cndmask_b32_e64 v4, 0, 1, s0
	v_cmp_eq_u32_e64 s0, 3, v17
	v_and_or_b32 v8, 0x1ff, v9, v8
	v_mul_f64_e32 v[10:11], s[8:9], v[10:11]
	v_lshrrev_b32_e32 v19, 8, v9
	v_or_b32_e32 v4, v15, v4
	s_or_b32 vcc_lo, s0, vcc_lo
	v_lshrrev_b32_e32 v15, 16, v5
	s_wait_alu 0xfffe
	v_add_co_ci_u32_e32 v12, vcc_lo, 0, v12, vcc_lo
	v_cmp_ne_u32_e32 vcc_lo, 0, v2
	v_bfe_u32 v20, v9, 20, 11
	v_lshl_or_b32 v16, v16, 16, v14
	v_lshrrev_b32_e32 v9, 16, v9
	s_wait_alu 0xfffd
	v_cndmask_b32_e64 v2, 0, 1, vcc_lo
	v_cmp_gt_i32_e32 vcc_lo, 1, v18
	s_delay_alu instid0(VALU_DEP_2) | instskip(SKIP_4) | instid1(VALU_DEP_3)
	v_lshl_or_b32 v2, v2, 9, 0x7c00
	s_wait_alu 0xfffd
	v_cndmask_b32_e32 v4, v13, v4, vcc_lo
	v_cmp_gt_i32_e32 vcc_lo, 31, v21
	v_mul_f16_e32 v13, v39, v15
	v_and_b32_e32 v17, 7, v4
	s_wait_alu 0xfffd
	v_cndmask_b32_e32 v12, 0x7c00, v12, vcc_lo
	v_cmp_ne_u32_e32 vcc_lo, 0, v8
	v_fmac_f16_e32 v13, v35, v5
	v_lshrrev_b32_e32 v4, 2, v4
	v_cmp_eq_u32_e64 s0, 3, v17
	s_wait_alu 0xfffd
	v_cndmask_b32_e64 v8, 0, 1, vcc_lo
	v_cmp_eq_u32_e32 vcc_lo, 0x40f, v21
	s_delay_alu instid0(VALU_DEP_2)
	v_and_or_b32 v8, 0xffe, v19, v8
	s_wait_alu 0xfffd
	v_cndmask_b32_e32 v2, v12, v2, vcc_lo
	v_cvt_f32_f16_e32 v12, v13
	v_cmp_lt_i32_e32 vcc_lo, 5, v17
	v_sub_nc_u32_e32 v19, 0x3f1, v20
	v_or_b32_e32 v17, 0x1000, v8
	v_and_or_b32 v22, 0x8000, v3, v2
	v_cvt_f64_f32_e32 v[12:13], v12
	s_or_b32 vcc_lo, s0, vcc_lo
	v_med3_i32 v19, v19, 0, 13
	s_wait_alu 0xfffe
	v_add_co_ci_u32_e32 v4, vcc_lo, 0, v4, vcc_lo
	v_cmp_ne_u32_e32 vcc_lo, 0, v0
	v_mul_f16_e32 v2, v39, v5
	v_lshrrev_b32_e32 v21, v19, v17
	s_wait_alu 0xfffd
	v_cndmask_b32_e64 v0, 0, 1, vcc_lo
	v_cmp_gt_i32_e32 vcc_lo, 31, v18
	s_delay_alu instid0(VALU_DEP_3)
	v_lshlrev_b32_e32 v3, v19, v21
	v_lshrrev_b32_e32 v19, 16, v1
	v_and_or_b32 v1, 0x1ff, v11, v10
	v_lshl_or_b32 v0, v0, 9, 0x7c00
	s_wait_alu 0xfffd
	v_cndmask_b32_e32 v4, 0x7c00, v4, vcc_lo
	v_cmp_eq_u32_e32 vcc_lo, 0x40f, v18
	v_add_nc_u32_e32 v10, 0xfffffc10, v20
	s_wait_alu 0xfffd
	s_delay_alu instid0(VALU_DEP_3)
	v_cndmask_b32_e32 v18, v4, v0, vcc_lo
	v_fma_f16 v0, v35, v15, -v2
	v_cmp_ne_u32_e32 vcc_lo, v3, v17
	v_lshrrev_b32_e32 v4, 8, v11
	v_bfe_u32 v15, v11, 20, 11
	v_lshl_or_b32 v17, v10, 12, v8
	v_cvt_f32_f16_e32 v0, v0
	s_wait_alu 0xfffd
	v_cndmask_b32_e64 v2, 0, 1, vcc_lo
	v_cmp_ne_u32_e32 vcc_lo, 0, v1
	v_and_or_b32 v14, 0x8000, v19, v18
	v_and_b32_e32 v18, 0xffff, v22
	v_cvt_f64_f32_e32 v[0:1], v0
	v_or_b32_e32 v5, v21, v2
	s_wait_alu 0xfffd
	v_cndmask_b32_e64 v3, 0, 1, vcc_lo
	v_cmp_gt_i32_e32 vcc_lo, 1, v10
	v_sub_nc_u32_e32 v21, 0x3f1, v15
	v_lshl_or_b32 v18, v14, 16, v18
	s_delay_alu instid0(VALU_DEP_4)
	v_and_or_b32 v20, 0xffe, v4, v3
	ds_load_2addr_b32 v[2:3], v33 offset0:198 offset1:231
	s_wait_alu 0xfffd
	v_cndmask_b32_e32 v17, v17, v5, vcc_lo
	v_mul_f64_e32 v[4:5], s[8:9], v[12:13]
	v_med3_i32 v13, v21, 0, 13
	v_or_b32_e32 v12, 0x1000, v20
	v_add_co_u32 v6, vcc_lo, v6, s2
	v_and_b32_e32 v19, 7, v17
	s_wait_alu 0xfffd
	v_add_co_ci_u32_e32 v7, vcc_lo, s3, v7, vcc_lo
	v_lshrrev_b32_e32 v21, v13, v12
	v_lshrrev_b32_e32 v14, 2, v17
	v_cmp_lt_i32_e32 vcc_lo, 5, v19
	v_cmp_eq_u32_e64 s0, 3, v19
	v_add_nc_u32_e32 v17, 0xfffffc10, v15
	v_lshlrev_b32_e32 v13, v13, v21
	s_delay_alu instid0(VALU_DEP_3) | instskip(NEXT) | instid1(VALU_DEP_2)
	s_or_b32 vcc_lo, s0, vcc_lo
	v_lshl_or_b32 v15, v17, 12, v20
	s_wait_dscnt 0x0
	v_lshrrev_b32_e32 v19, 16, v2
	v_cmp_ne_u32_e64 s1, v13, v12
	s_wait_alu 0xfffe
	v_add_co_ci_u32_e32 v14, vcc_lo, 0, v14, vcc_lo
	v_cmp_ne_u32_e32 vcc_lo, 0, v8
	v_mul_f16_e32 v13, v37, v19
	s_wait_alu 0xf1ff
	v_cndmask_b32_e64 v12, 0, 1, s1
	s_wait_alu 0xfffd
	v_cndmask_b32_e64 v8, 0, 1, vcc_lo
	v_fmac_f16_e32 v13, v31, v2
	s_delay_alu instid0(VALU_DEP_3)
	v_or_b32_e32 v12, v21, v12
	v_mul_f64_e32 v[0:1], s[8:9], v[0:1]
	v_cmp_gt_i32_e32 vcc_lo, 1, v17
	v_lshl_or_b32 v8, v8, 9, 0x7c00
	v_mul_f16_e32 v2, v37, v2
	s_wait_alu 0xfffd
	v_cndmask_b32_e32 v21, v15, v12, vcc_lo
	v_cvt_f32_f16_e32 v12, v13
	v_cmp_gt_i32_e32 vcc_lo, 31, v10
	v_and_or_b32 v4, 0x1ff, v5, v4
	v_fma_f16 v2, v31, v19, -v2
	v_and_b32_e32 v23, 7, v21
	v_cvt_f64_f32_e32 v[12:13], v12
	s_wait_alu 0xfffd
	v_cndmask_b32_e32 v22, 0x7c00, v14, vcc_lo
	v_add_co_u32 v14, vcc_lo, v6, s2
	s_wait_alu 0xfffd
	v_add_co_ci_u32_e32 v15, vcc_lo, s3, v7, vcc_lo
	v_cmp_eq_u32_e32 vcc_lo, 0x40f, v10
	v_cmp_ne_u32_e64 s0, 0, v4
	v_lshrrev_b32_e32 v21, 2, v21
	v_lshrrev_b32_e32 v10, 8, v5
	v_cvt_f32_f16_e32 v2, v2
	s_wait_alu 0xfffd
	v_cndmask_b32_e32 v8, v22, v8, vcc_lo
	v_cmp_lt_i32_e32 vcc_lo, 5, v23
	s_wait_alu 0xf1ff
	v_cndmask_b32_e64 v4, 0, 1, s0
	v_cmp_eq_u32_e64 s0, 3, v23
	v_bfe_u32 v22, v5, 20, 11
	v_and_or_b32 v24, 0x8000, v9, v8
	s_clause 0x1
	global_store_b32 v[6:7], v16, off
	global_store_b32 v[14:15], v18, off
	v_and_or_b32 v4, 0xffe, v10, v4
	s_or_b32 vcc_lo, s0, vcc_lo
	v_sub_nc_u32_e32 v10, 0x3f1, v22
	s_wait_alu 0xfffe
	v_add_co_ci_u32_e32 v21, vcc_lo, 0, v21, vcc_lo
	v_cmp_ne_u32_e32 vcc_lo, 0, v20
	v_or_b32_e32 v23, 0x1000, v4
	v_med3_i32 v10, v10, 0, 13
	v_and_or_b32 v0, 0x1ff, v1, v0
	v_add_nc_u32_e32 v19, 0xfffffc10, v22
	s_wait_alu 0xfffd
	v_cndmask_b32_e64 v20, 0, 1, vcc_lo
	v_cmp_gt_i32_e32 vcc_lo, 31, v17
	v_lshrrev_b32_e32 v25, v10, v23
	v_lshrrev_b32_e32 v5, 16, v5
	v_cmp_eq_u32_e64 s1, 0x40f, v19
	v_lshl_or_b32 v20, v20, 9, 0x7c00
	s_wait_alu 0xfffd
	v_cndmask_b32_e32 v21, 0x7c00, v21, vcc_lo
	v_cmp_eq_u32_e32 vcc_lo, 0x40f, v17
	v_lshlrev_b32_e32 v10, v10, v25
	v_mul_f64_e32 v[8:9], s[8:9], v[12:13]
	v_lshl_or_b32 v13, v19, 12, v4
	s_wait_alu 0xfffd
	v_cndmask_b32_e32 v17, v21, v20, vcc_lo
	v_cmp_ne_u32_e32 vcc_lo, 0, v0
	v_lshrrev_b32_e32 v20, 16, v11
	v_lshrrev_b32_e32 v11, 8, v1
	v_bfe_u32 v21, v1, 20, 11
	v_lshrrev_b32_e32 v1, 16, v1
	s_wait_alu 0xfffd
	v_cndmask_b32_e64 v0, 0, 1, vcc_lo
	v_cmp_ne_u32_e32 vcc_lo, v10, v23
	s_delay_alu instid0(VALU_DEP_2)
	v_and_or_b32 v0, 0xffe, v11, v0
	s_wait_alu 0xfffd
	v_cndmask_b32_e64 v10, 0, 1, vcc_lo
	v_sub_nc_u32_e32 v11, 0x3f1, v21
	v_cmp_gt_i32_e32 vcc_lo, 1, v19
	v_or_b32_e32 v22, 0x1000, v0
	s_delay_alu instid0(VALU_DEP_4) | instskip(NEXT) | instid1(VALU_DEP_4)
	v_or_b32_e32 v12, v25, v10
	v_med3_i32 v23, v11, 0, 13
	v_cvt_f64_f32_e32 v[10:11], v2
	v_and_or_b32 v2, 0x8000, v20, v17
	v_and_b32_e32 v17, 0xffff, v24
	s_wait_alu 0xfffd
	v_cndmask_b32_e32 v12, v13, v12, vcc_lo
	v_lshrrev_b32_e32 v13, v23, v22
	v_add_co_u32 v6, vcc_lo, v14, s2
	v_lshl_or_b32 v16, v2, 16, v17
	s_delay_alu instid0(VALU_DEP_4) | instskip(NEXT) | instid1(VALU_DEP_4)
	v_and_b32_e32 v2, 7, v12
	v_lshlrev_b32_e32 v17, v23, v13
	v_lshrrev_b32_e32 v14, 16, v3
	s_wait_alu 0xfffd
	v_add_co_ci_u32_e32 v7, vcc_lo, s3, v15, vcc_lo
	v_cmp_lt_i32_e32 vcc_lo, 5, v2
	v_cmp_ne_u32_e64 s0, v17, v22
	v_add_nc_u32_e32 v17, 0xfffffc10, v21
	v_mul_f16_e32 v18, v34, v14
	v_and_or_b32 v8, 0x1ff, v9, v8
	v_lshrrev_b32_e32 v20, 8, v9
	s_wait_alu 0xf1ff
	v_cndmask_b32_e64 v15, 0, 1, s0
	v_cmp_eq_u32_e64 s0, 3, v2
	v_lshrrev_b32_e32 v2, 2, v12
	v_fmac_f16_e32 v18, v30, v3
	s_delay_alu instid0(VALU_DEP_4) | instskip(NEXT) | instid1(VALU_DEP_4)
	v_or_b32_e32 v12, v13, v15
	s_or_b32 vcc_lo, s0, vcc_lo
	v_lshl_or_b32 v13, v17, 12, v0
	s_wait_alu 0xfffe
	v_add_co_ci_u32_e32 v2, vcc_lo, 0, v2, vcc_lo
	v_cmp_gt_i32_e32 vcc_lo, 1, v17
	v_cvt_f32_f16_e32 v15, v18
	s_wait_alu 0xfffd
	v_cndmask_b32_e32 v18, v13, v12, vcc_lo
	v_cmp_ne_u32_e32 vcc_lo, 0, v8
	s_delay_alu instid0(VALU_DEP_3)
	v_cvt_f64_f32_e32 v[12:13], v15
	v_bfe_u32 v15, v9, 20, 11
	v_mul_f64_e32 v[10:11], s[8:9], v[10:11]
	s_wait_alu 0xfffd
	v_cndmask_b32_e64 v8, 0, 1, vcc_lo
	v_cmp_ne_u32_e32 vcc_lo, 0, v4
	s_delay_alu instid0(VALU_DEP_2)
	v_and_or_b32 v8, 0xffe, v20, v8
	s_wait_alu 0xfffd
	v_cndmask_b32_e64 v4, 0, 1, vcc_lo
	v_sub_nc_u32_e32 v20, 0x3f1, v15
	v_add_nc_u32_e32 v15, 0xfffffc10, v15
	v_and_b32_e32 v21, 7, v18
	v_cmp_gt_i32_e32 vcc_lo, 31, v19
	v_lshrrev_b32_e32 v18, 2, v18
	v_med3_i32 v20, v20, 0, 13
	v_lshl_or_b32 v4, v4, 9, 0x7c00
	v_cmp_eq_u32_e64 s0, 3, v21
	s_wait_alu 0xfffd
	v_cndmask_b32_e32 v2, 0x7c00, v2, vcc_lo
	v_cmp_lt_i32_e32 vcc_lo, 5, v21
	v_or_b32_e32 v22, 0x1000, v8
	s_delay_alu instid0(VALU_DEP_3) | instskip(SKIP_1) | instid1(VALU_DEP_2)
	v_cndmask_b32_e64 v2, v2, v4, s1
	s_or_b32 vcc_lo, s0, vcc_lo
	v_lshrrev_b32_e32 v4, v20, v22
	s_wait_alu 0xfffe
	v_add_co_ci_u32_e32 v18, vcc_lo, 0, v18, vcc_lo
	v_cmp_ne_u32_e32 vcc_lo, 0, v0
	v_and_or_b32 v5, 0x8000, v5, v2
	v_lshlrev_b32_e32 v19, v20, v4
	s_wait_alu 0xfffd
	v_cndmask_b32_e64 v0, 0, 1, vcc_lo
	v_cmp_gt_i32_e32 vcc_lo, 31, v17
	v_and_b32_e32 v5, 0xffff, v5
	s_delay_alu instid0(VALU_DEP_3)
	v_lshl_or_b32 v0, v0, 9, 0x7c00
	s_wait_alu 0xfffd
	v_cndmask_b32_e32 v18, 0x7c00, v18, vcc_lo
	v_cmp_ne_u32_e32 vcc_lo, v19, v22
	v_and_or_b32 v10, 0x1ff, v11, v10
	s_wait_alu 0xfffd
	v_cndmask_b32_e64 v2, 0, 1, vcc_lo
	v_cmp_eq_u32_e32 vcc_lo, 0x40f, v17
	ds_load_b32 v17, v33 offset:1056
	v_or_b32_e32 v4, v4, v2
	s_wait_alu 0xfffd
	v_cndmask_b32_e32 v0, v18, v0, vcc_lo
	v_mul_f16_e32 v18, v34, v3
	v_mul_f64_e32 v[2:3], s[8:9], v[12:13]
	v_lshl_or_b32 v12, v15, 12, v8
	v_cmp_gt_i32_e32 vcc_lo, 1, v15
	s_delay_alu instid0(VALU_DEP_4)
	v_fma_f16 v13, v30, v14, -v18
	v_bfe_u32 v14, v11, 20, 11
	v_and_or_b32 v18, 0x8000, v1, v0
	s_wait_alu 0xfffd
	v_cndmask_b32_e32 v4, v12, v4, vcc_lo
	v_cmp_ne_u32_e32 vcc_lo, 0, v10
	v_cvt_f32_f16_e32 v12, v13
	v_lshrrev_b32_e32 v13, 8, v11
	v_lshl_or_b32 v18, v18, 16, v5
	v_and_b32_e32 v19, 7, v4
	s_wait_alu 0xfffd
	v_cndmask_b32_e64 v10, 0, 1, vcc_lo
	v_cvt_f64_f32_e32 v[0:1], v12
	v_sub_nc_u32_e32 v12, 0x3f1, v14
	v_lshrrev_b32_e32 v4, 2, v4
	v_cmp_lt_i32_e32 vcc_lo, 5, v19
	v_and_or_b32 v10, 0xffe, v13, v10
	s_wait_dscnt 0x0
	v_lshrrev_b32_e32 v13, 16, v17
	v_cmp_eq_u32_e64 s0, 3, v19
	v_med3_i32 v12, v12, 0, 13
	v_add_nc_u32_e32 v14, 0xfffffc10, v14
	v_or_b32_e32 v20, 0x1000, v10
	v_mul_f16_e32 v21, v32, v13
	s_or_b32 vcc_lo, s0, vcc_lo
	s_wait_alu 0xfffe
	v_add_co_ci_u32_e32 v4, vcc_lo, 0, v4, vcc_lo
	v_lshrrev_b32_e32 v19, v12, v20
	v_fmac_f16_e32 v21, v29, v17
	v_cmp_ne_u32_e32 vcc_lo, 0, v8
	s_delay_alu instid0(VALU_DEP_3) | instskip(NEXT) | instid1(VALU_DEP_3)
	v_lshlrev_b32_e32 v8, v12, v19
	v_cvt_f32_f16_e32 v12, v21
	s_wait_alu 0xfffd
	v_cndmask_b32_e64 v5, 0, 1, vcc_lo
	v_cmp_gt_i32_e32 vcc_lo, 31, v15
	v_and_or_b32 v2, 0x1ff, v3, v2
	s_delay_alu instid0(VALU_DEP_3)
	v_lshl_or_b32 v22, v5, 9, 0x7c00
	s_wait_alu 0xfffd
	v_cndmask_b32_e32 v21, 0x7c00, v4, vcc_lo
	v_cvt_f64_f32_e32 v[4:5], v12
	v_cmp_ne_u32_e32 vcc_lo, v8, v20
	v_mul_f16_e32 v12, v32, v17
	v_lshrrev_b32_e32 v17, 8, v3
	s_wait_alu 0xfffd
	v_cndmask_b32_e64 v8, 0, 1, vcc_lo
	v_cmp_ne_u32_e32 vcc_lo, 0, v2
	v_fma_f16 v12, v29, v13, -v12
	v_lshl_or_b32 v13, v14, 12, v10
	v_mul_f64_e32 v[0:1], s[8:9], v[0:1]
	v_or_b32_e32 v8, v19, v8
	s_wait_alu 0xfffd
	v_cndmask_b32_e64 v2, 0, 1, vcc_lo
	v_bfe_u32 v19, v3, 20, 11
	v_cmp_gt_i32_e32 vcc_lo, 1, v14
	v_cvt_f32_f16_e32 v12, v12
	v_lshrrev_b32_e32 v3, 16, v3
	v_and_or_b32 v2, 0xffe, v17, v2
	v_sub_nc_u32_e32 v17, 0x3f1, v19
	s_wait_alu 0xfffd
	v_dual_cndmask_b32 v20, v13, v8 :: v_dual_add_nc_u32 v19, 0xfffffc10, v19
	v_cmp_eq_u32_e32 vcc_lo, 0x40f, v15
	v_or_b32_e32 v23, 0x1000, v2
	v_med3_i32 v17, v17, 0, 13
	v_cvt_f64_f32_e32 v[12:13], v12
	s_wait_alu 0xfffd
	v_dual_cndmask_b32 v15, v21, v22 :: v_dual_and_b32 v22, 7, v20
	v_add_co_u32 v8, vcc_lo, v6, s2
	v_lshrrev_b32_e32 v24, v17, v23
	v_lshrrev_b32_e32 v21, 16, v9
	s_wait_alu 0xfffd
	v_add_co_ci_u32_e32 v9, vcc_lo, s3, v7, vcc_lo
	v_cmp_lt_i32_e32 vcc_lo, 5, v22
	v_cmp_eq_u32_e64 s0, 3, v22
	v_lshrrev_b32_e32 v20, 2, v20
	v_lshlrev_b32_e32 v17, v17, v24
	v_mul_f64_e32 v[4:5], s[8:9], v[4:5]
	v_and_or_b32 v15, 0x8000, v21, v15
	s_or_b32 vcc_lo, s0, vcc_lo
	v_lshl_or_b32 v21, v19, 12, v2
	s_wait_alu 0xfffe
	v_add_co_ci_u32_e32 v20, vcc_lo, 0, v20, vcc_lo
	v_cmp_ne_u32_e64 s1, v17, v23
	v_cmp_ne_u32_e32 vcc_lo, 0, v10
	v_and_or_b32 v0, 0x1ff, v1, v0
	s_wait_alu 0xf1ff
	s_delay_alu instid0(VALU_DEP_3)
	v_cndmask_b32_e64 v17, 0, 1, s1
	s_wait_alu 0xfffd
	v_cndmask_b32_e64 v10, 0, 1, vcc_lo
	v_cmp_gt_i32_e32 vcc_lo, 31, v14
	v_lshrrev_b32_e32 v22, 8, v1
	v_or_b32_e32 v17, v24, v17
	s_delay_alu instid0(VALU_DEP_4)
	v_lshl_or_b32 v10, v10, 9, 0x7c00
	s_wait_alu 0xfffd
	v_cndmask_b32_e32 v20, 0x7c00, v20, vcc_lo
	v_cmp_gt_i32_e32 vcc_lo, 1, v19
	s_wait_alu 0xfffd
	v_cndmask_b32_e32 v17, v21, v17, vcc_lo
	v_cmp_eq_u32_e32 vcc_lo, 0x40f, v14
	s_wait_alu 0xfffd
	s_delay_alu instid0(VALU_DEP_2)
	v_dual_cndmask_b32 v14, v20, v10 :: v_dual_and_b32 v21, 7, v17
	v_lshrrev_b32_e32 v20, 16, v11
	v_cmp_ne_u32_e32 vcc_lo, 0, v0
	v_mul_f64_e32 v[10:11], s[8:9], v[12:13]
	v_bfe_u32 v12, v1, 20, 11
	v_cmp_eq_u32_e64 s0, 3, v21
	v_and_or_b32 v13, 0x8000, v20, v14
	v_and_b32_e32 v14, 0xffff, v15
	s_wait_alu 0xfffd
	v_cndmask_b32_e64 v0, 0, 1, vcc_lo
	v_cmp_lt_i32_e32 vcc_lo, 5, v21
	v_sub_nc_u32_e32 v15, 0x3f1, v12
	v_and_or_b32 v4, 0x1ff, v5, v4
	v_lshl_or_b32 v13, v13, 16, v14
	v_lshrrev_b32_e32 v14, 2, v17
	v_and_or_b32 v0, 0xffe, v22, v0
	s_or_b32 vcc_lo, s0, vcc_lo
	v_med3_i32 v15, v15, 0, 13
	v_lshrrev_b32_e32 v21, 8, v5
	s_wait_alu 0xfffe
	v_add_co_ci_u32_e32 v14, vcc_lo, 0, v14, vcc_lo
	v_or_b32_e32 v17, 0x1000, v0
	v_cmp_ne_u32_e32 vcc_lo, 0, v2
	v_bfe_u32 v22, v5, 20, 11
	v_add_nc_u32_e32 v12, 0xfffffc10, v12
	v_lshrrev_b32_e32 v1, 16, v1
	v_lshrrev_b32_e32 v20, v15, v17
	s_wait_alu 0xfffd
	v_cndmask_b32_e64 v2, 0, 1, vcc_lo
	v_cmp_gt_i32_e32 vcc_lo, 31, v19
	v_lshrrev_b32_e32 v5, 16, v5
	s_delay_alu instid0(VALU_DEP_3)
	v_lshl_or_b32 v2, v2, 9, 0x7c00
	s_wait_alu 0xfffd
	v_dual_cndmask_b32 v14, 0x7c00, v14 :: v_dual_lshlrev_b32 v15, v15, v20
	v_cmp_ne_u32_e32 vcc_lo, 0, v4
	s_wait_alu 0xfffd
	v_cndmask_b32_e64 v4, 0, 1, vcc_lo
	s_delay_alu instid0(VALU_DEP_3) | instskip(SKIP_2) | instid1(VALU_DEP_4)
	v_cmp_ne_u32_e32 vcc_lo, v15, v17
	v_sub_nc_u32_e32 v17, 0x3f1, v22
	v_and_or_b32 v10, 0x1ff, v11, v10
	v_and_or_b32 v4, 0xffe, v21, v4
	s_wait_alu 0xfffd
	v_cndmask_b32_e64 v15, 0, 1, vcc_lo
	v_cmp_eq_u32_e32 vcc_lo, 0x40f, v19
	v_med3_i32 v17, v17, 0, 13
	v_bfe_u32 v21, v11, 20, 11
	v_or_b32_e32 v19, 0x1000, v4
	s_wait_alu 0xfffd
	v_cndmask_b32_e32 v2, v14, v2, vcc_lo
	v_or_b32_e32 v14, v20, v15
	v_lshl_or_b32 v15, v12, 12, v0
	v_cmp_gt_i32_e32 vcc_lo, 1, v12
	v_lshrrev_b32_e32 v20, 8, v11
	v_and_or_b32 v2, 0x8000, v3, v2
	s_wait_alu 0xfffd
	v_cndmask_b32_e32 v14, v15, v14, vcc_lo
	v_lshrrev_b32_e32 v15, v17, v19
	v_cmp_ne_u32_e32 vcc_lo, 0, v10
	v_and_b32_e32 v2, 0xffff, v2
	s_delay_alu instid0(VALU_DEP_3)
	v_lshlrev_b32_e32 v17, v17, v15
	s_wait_alu 0xfffd
	v_cndmask_b32_e64 v10, 0, 1, vcc_lo
	v_and_b32_e32 v23, 7, v14
	v_lshrrev_b32_e32 v14, 2, v14
	v_cmp_ne_u32_e64 s0, v17, v19
	s_delay_alu instid0(VALU_DEP_4)
	v_and_or_b32 v3, 0xffe, v20, v10
	v_sub_nc_u32_e32 v10, 0x3f1, v21
	v_cmp_lt_i32_e32 vcc_lo, 5, v23
	v_add_nc_u32_e32 v20, 0xfffffc10, v22
	s_wait_alu 0xf1ff
	v_cndmask_b32_e64 v17, 0, 1, s0
	v_cmp_eq_u32_e64 s0, 3, v23
	v_or_b32_e32 v19, 0x1000, v3
	v_med3_i32 v10, v10, 0, 13
	v_lshl_or_b32 v22, v20, 12, v4
	v_or_b32_e32 v15, v15, v17
	s_or_b32 vcc_lo, s0, vcc_lo
	s_wait_alu 0xfffe
	v_add_co_ci_u32_e32 v14, vcc_lo, 0, v14, vcc_lo
	v_lshrrev_b32_e32 v17, v10, v19
	v_cmp_gt_i32_e32 vcc_lo, 1, v20
	s_delay_alu instid0(VALU_DEP_2)
	v_lshlrev_b32_e32 v10, v10, v17
	s_wait_alu 0xfffd
	v_cndmask_b32_e32 v15, v22, v15, vcc_lo
	v_cmp_ne_u32_e32 vcc_lo, 0, v0
	s_wait_alu 0xfffd
	v_cndmask_b32_e64 v0, 0, 1, vcc_lo
	v_cmp_ne_u32_e32 vcc_lo, v10, v19
	v_add_nc_u32_e32 v19, 0xfffffc10, v21
	s_delay_alu instid0(VALU_DEP_3)
	v_lshl_or_b32 v0, v0, 9, 0x7c00
	s_wait_alu 0xfffd
	v_cndmask_b32_e64 v10, 0, 1, vcc_lo
	v_cmp_gt_i32_e32 vcc_lo, 31, v12
	v_and_b32_e32 v21, 7, v15
	v_cmp_gt_i32_e64 s1, 1, v19
	s_delay_alu instid0(VALU_DEP_4)
	v_or_b32_e32 v10, v17, v10
	s_wait_alu 0xfffd
	v_cndmask_b32_e32 v14, 0x7c00, v14, vcc_lo
	v_lshl_or_b32 v17, v19, 12, v3
	v_cmp_lt_i32_e32 vcc_lo, 5, v21
	v_cmp_eq_u32_e64 s0, 3, v21
	s_wait_alu 0xf1ff
	s_delay_alu instid0(VALU_DEP_3) | instskip(SKIP_3) | instid1(VALU_DEP_2)
	v_cndmask_b32_e64 v10, v17, v10, s1
	v_cmp_eq_u32_e64 s1, 0x40f, v12
	v_lshrrev_b32_e32 v12, 2, v15
	s_or_b32 vcc_lo, s0, vcc_lo
	v_cndmask_b32_e64 v0, v14, v0, s1
	s_wait_alu 0xfffe
	s_delay_alu instid0(VALU_DEP_2) | instskip(SKIP_4) | instid1(VALU_DEP_4)
	v_add_co_ci_u32_e32 v12, vcc_lo, 0, v12, vcc_lo
	v_and_b32_e32 v14, 7, v10
	v_cmp_ne_u32_e32 vcc_lo, 0, v4
	v_lshrrev_b32_e32 v10, 2, v10
	v_cmp_gt_i32_e64 s1, 31, v20
	v_cmp_eq_u32_e64 s0, 3, v14
	s_wait_alu 0xfffd
	v_cndmask_b32_e64 v4, 0, 1, vcc_lo
	v_cmp_lt_i32_e32 vcc_lo, 5, v14
	s_wait_alu 0xf1ff
	v_cndmask_b32_e64 v12, 0x7c00, v12, s1
	s_delay_alu instid0(VALU_DEP_3)
	v_lshl_or_b32 v4, v4, 9, 0x7c00
	s_or_b32 vcc_lo, s0, vcc_lo
	s_wait_alu 0xfffe
	v_add_co_ci_u32_e32 v10, vcc_lo, 0, v10, vcc_lo
	v_cmp_ne_u32_e32 vcc_lo, 0, v3
	s_wait_alu 0xfffd
	v_cndmask_b32_e64 v3, 0, 1, vcc_lo
	v_cmp_eq_u32_e32 vcc_lo, 0x40f, v20
	s_delay_alu instid0(VALU_DEP_2) | instskip(SKIP_4) | instid1(VALU_DEP_3)
	v_lshl_or_b32 v3, v3, 9, 0x7c00
	s_wait_alu 0xfffd
	v_cndmask_b32_e32 v4, v12, v4, vcc_lo
	v_cmp_gt_i32_e32 vcc_lo, 31, v19
	v_and_or_b32 v12, 0x8000, v1, v0
	v_and_or_b32 v4, 0x8000, v5, v4
	s_wait_alu 0xfffd
	v_cndmask_b32_e32 v10, 0x7c00, v10, vcc_lo
	v_cmp_eq_u32_e32 vcc_lo, 0x40f, v19
	v_lshrrev_b32_e32 v5, 16, v11
	s_wait_alu 0xfffd
	s_delay_alu instid0(VALU_DEP_3)
	v_dual_cndmask_b32 v3, v10, v3 :: v_dual_and_b32 v4, 0xffff, v4
	v_add_co_u32 v0, vcc_lo, v8, s2
	s_wait_alu 0xfffd
	v_add_co_ci_u32_e32 v1, vcc_lo, s3, v9, vcc_lo
	v_lshl_or_b32 v10, v12, 16, v2
	v_and_or_b32 v5, 0x8000, v5, v3
	v_add_co_u32 v2, vcc_lo, v0, s2
	s_wait_alu 0xfffd
	v_add_co_ci_u32_e32 v3, vcc_lo, s3, v1, vcc_lo
	s_delay_alu instid0(VALU_DEP_3) | instskip(NEXT) | instid1(VALU_DEP_3)
	v_lshl_or_b32 v11, v5, 16, v4
	v_add_co_u32 v4, vcc_lo, v2, s2
	s_wait_alu 0xfffd
	s_delay_alu instid0(VALU_DEP_3)
	v_add_co_ci_u32_e32 v5, vcc_lo, s3, v3, vcc_lo
	global_store_b32 v[6:7], v16, off
	global_store_b32 v[8:9], v18, off
	;; [unrolled: 1-line block ×5, first 2 shown]
.LBB0_10:
	s_nop 0
	s_sendmsg sendmsg(MSG_DEALLOC_VGPRS)
	s_endpgm
	.section	.rodata,"a",@progbits
	.p2align	6, 0x0
	.amdhsa_kernel bluestein_single_fwd_len297_dim1_half_op_CI_CI
		.amdhsa_group_segment_fixed_size 8316
		.amdhsa_private_segment_fixed_size 0
		.amdhsa_kernarg_size 104
		.amdhsa_user_sgpr_count 2
		.amdhsa_user_sgpr_dispatch_ptr 0
		.amdhsa_user_sgpr_queue_ptr 0
		.amdhsa_user_sgpr_kernarg_segment_ptr 1
		.amdhsa_user_sgpr_dispatch_id 0
		.amdhsa_user_sgpr_private_segment_size 0
		.amdhsa_wavefront_size32 1
		.amdhsa_uses_dynamic_stack 0
		.amdhsa_enable_private_segment 0
		.amdhsa_system_sgpr_workgroup_id_x 1
		.amdhsa_system_sgpr_workgroup_id_y 0
		.amdhsa_system_sgpr_workgroup_id_z 0
		.amdhsa_system_sgpr_workgroup_info 0
		.amdhsa_system_vgpr_workitem_id 0
		.amdhsa_next_free_vgpr 175
		.amdhsa_next_free_sgpr 20
		.amdhsa_reserve_vcc 1
		.amdhsa_float_round_mode_32 0
		.amdhsa_float_round_mode_16_64 0
		.amdhsa_float_denorm_mode_32 3
		.amdhsa_float_denorm_mode_16_64 3
		.amdhsa_fp16_overflow 0
		.amdhsa_workgroup_processor_mode 1
		.amdhsa_memory_ordered 1
		.amdhsa_forward_progress 0
		.amdhsa_round_robin_scheduling 0
		.amdhsa_exception_fp_ieee_invalid_op 0
		.amdhsa_exception_fp_denorm_src 0
		.amdhsa_exception_fp_ieee_div_zero 0
		.amdhsa_exception_fp_ieee_overflow 0
		.amdhsa_exception_fp_ieee_underflow 0
		.amdhsa_exception_fp_ieee_inexact 0
		.amdhsa_exception_int_div_zero 0
	.end_amdhsa_kernel
	.text
.Lfunc_end0:
	.size	bluestein_single_fwd_len297_dim1_half_op_CI_CI, .Lfunc_end0-bluestein_single_fwd_len297_dim1_half_op_CI_CI
                                        ; -- End function
	.section	.AMDGPU.csdata,"",@progbits
; Kernel info:
; codeLenInByte = 16492
; NumSgprs: 22
; NumVgprs: 175
; ScratchSize: 0
; MemoryBound: 0
; FloatMode: 240
; IeeeMode: 1
; LDSByteSize: 8316 bytes/workgroup (compile time only)
; SGPRBlocks: 2
; VGPRBlocks: 21
; NumSGPRsForWavesPerEU: 22
; NumVGPRsForWavesPerEU: 175
; Occupancy: 8
; WaveLimiterHint : 1
; COMPUTE_PGM_RSRC2:SCRATCH_EN: 0
; COMPUTE_PGM_RSRC2:USER_SGPR: 2
; COMPUTE_PGM_RSRC2:TRAP_HANDLER: 0
; COMPUTE_PGM_RSRC2:TGID_X_EN: 1
; COMPUTE_PGM_RSRC2:TGID_Y_EN: 0
; COMPUTE_PGM_RSRC2:TGID_Z_EN: 0
; COMPUTE_PGM_RSRC2:TIDIG_COMP_CNT: 0
	.text
	.p2alignl 7, 3214868480
	.fill 96, 4, 3214868480
	.type	__hip_cuid_84fd3701bb3cab2c,@object ; @__hip_cuid_84fd3701bb3cab2c
	.section	.bss,"aw",@nobits
	.globl	__hip_cuid_84fd3701bb3cab2c
__hip_cuid_84fd3701bb3cab2c:
	.byte	0                               ; 0x0
	.size	__hip_cuid_84fd3701bb3cab2c, 1

	.ident	"AMD clang version 19.0.0git (https://github.com/RadeonOpenCompute/llvm-project roc-6.4.0 25133 c7fe45cf4b819c5991fe208aaa96edf142730f1d)"
	.section	".note.GNU-stack","",@progbits
	.addrsig
	.addrsig_sym __hip_cuid_84fd3701bb3cab2c
	.amdgpu_metadata
---
amdhsa.kernels:
  - .args:
      - .actual_access:  read_only
        .address_space:  global
        .offset:         0
        .size:           8
        .value_kind:     global_buffer
      - .actual_access:  read_only
        .address_space:  global
        .offset:         8
        .size:           8
        .value_kind:     global_buffer
      - .actual_access:  read_only
        .address_space:  global
        .offset:         16
        .size:           8
        .value_kind:     global_buffer
      - .actual_access:  read_only
        .address_space:  global
        .offset:         24
        .size:           8
        .value_kind:     global_buffer
      - .actual_access:  read_only
        .address_space:  global
        .offset:         32
        .size:           8
        .value_kind:     global_buffer
      - .offset:         40
        .size:           8
        .value_kind:     by_value
      - .address_space:  global
        .offset:         48
        .size:           8
        .value_kind:     global_buffer
      - .address_space:  global
        .offset:         56
        .size:           8
        .value_kind:     global_buffer
      - .address_space:  global
        .offset:         64
        .size:           8
        .value_kind:     global_buffer
      - .address_space:  global
        .offset:         72
        .size:           8
        .value_kind:     global_buffer
      - .offset:         80
        .size:           4
        .value_kind:     by_value
      - .address_space:  global
        .offset:         88
        .size:           8
        .value_kind:     global_buffer
      - .address_space:  global
        .offset:         96
        .size:           8
        .value_kind:     global_buffer
    .group_segment_fixed_size: 8316
    .kernarg_segment_align: 8
    .kernarg_segment_size: 104
    .language:       OpenCL C
    .language_version:
      - 2
      - 0
    .max_flat_workgroup_size: 231
    .name:           bluestein_single_fwd_len297_dim1_half_op_CI_CI
    .private_segment_fixed_size: 0
    .sgpr_count:     22
    .sgpr_spill_count: 0
    .symbol:         bluestein_single_fwd_len297_dim1_half_op_CI_CI.kd
    .uniform_work_group_size: 1
    .uses_dynamic_stack: false
    .vgpr_count:     175
    .vgpr_spill_count: 0
    .wavefront_size: 32
    .workgroup_processor_mode: 1
amdhsa.target:   amdgcn-amd-amdhsa--gfx1201
amdhsa.version:
  - 1
  - 2
...

	.end_amdgpu_metadata
